;; amdgpu-corpus repo=ROCm/rocFFT kind=compiled arch=gfx906 opt=O3
	.text
	.amdgcn_target "amdgcn-amd-amdhsa--gfx906"
	.amdhsa_code_object_version 6
	.protected	fft_rtc_fwd_len2000_factors_5_5_5_16_wgs_125_tpt_125_halfLds_half_op_CI_CI_unitstride_sbrr_C2R_dirReg ; -- Begin function fft_rtc_fwd_len2000_factors_5_5_5_16_wgs_125_tpt_125_halfLds_half_op_CI_CI_unitstride_sbrr_C2R_dirReg
	.globl	fft_rtc_fwd_len2000_factors_5_5_5_16_wgs_125_tpt_125_halfLds_half_op_CI_CI_unitstride_sbrr_C2R_dirReg
	.p2align	8
	.type	fft_rtc_fwd_len2000_factors_5_5_5_16_wgs_125_tpt_125_halfLds_half_op_CI_CI_unitstride_sbrr_C2R_dirReg,@function
fft_rtc_fwd_len2000_factors_5_5_5_16_wgs_125_tpt_125_halfLds_half_op_CI_CI_unitstride_sbrr_C2R_dirReg: ; @fft_rtc_fwd_len2000_factors_5_5_5_16_wgs_125_tpt_125_halfLds_half_op_CI_CI_unitstride_sbrr_C2R_dirReg
; %bb.0:
	s_load_dwordx4 s[8:11], s[4:5], 0x58
	s_load_dwordx4 s[12:15], s[4:5], 0x0
	;; [unrolled: 1-line block ×3, first 2 shown]
	v_mul_u32_u24_e32 v1, 0x20d, v0
	v_mov_b32_e32 v3, 0
	v_mov_b32_e32 v7, 0
	s_waitcnt lgkmcnt(0)
	v_cmp_lt_u64_e64 s[0:1], s[14:15], 2
	v_add_u32_sdwa v9, s6, v1 dst_sel:DWORD dst_unused:UNUSED_PAD src0_sel:DWORD src1_sel:WORD_1
	v_mov_b32_e32 v10, v3
	s_and_b64 vcc, exec, s[0:1]
	v_mov_b32_e32 v8, 0
	s_cbranch_vccnz .LBB0_8
; %bb.1:
	s_load_dwordx2 s[0:1], s[4:5], 0x10
	s_add_u32 s2, s18, 8
	s_addc_u32 s3, s19, 0
	s_add_u32 s6, s16, 8
	s_addc_u32 s7, s17, 0
	v_mov_b32_e32 v7, 0
	s_waitcnt lgkmcnt(0)
	s_add_u32 s20, s0, 8
	v_mov_b32_e32 v8, 0
	v_mov_b32_e32 v1, v7
	s_addc_u32 s21, s1, 0
	s_mov_b64 s[22:23], 1
	v_mov_b32_e32 v2, v8
.LBB0_2:                                ; =>This Inner Loop Header: Depth=1
	s_load_dwordx2 s[24:25], s[20:21], 0x0
                                        ; implicit-def: $vgpr5_vgpr6
	s_waitcnt lgkmcnt(0)
	v_or_b32_e32 v4, s25, v10
	v_cmp_ne_u64_e32 vcc, 0, v[3:4]
	s_and_saveexec_b64 s[0:1], vcc
	s_xor_b64 s[26:27], exec, s[0:1]
	s_cbranch_execz .LBB0_4
; %bb.3:                                ;   in Loop: Header=BB0_2 Depth=1
	v_cvt_f32_u32_e32 v4, s24
	v_cvt_f32_u32_e32 v5, s25
	s_sub_u32 s0, 0, s24
	s_subb_u32 s1, 0, s25
	v_mac_f32_e32 v4, 0x4f800000, v5
	v_rcp_f32_e32 v4, v4
	v_mul_f32_e32 v4, 0x5f7ffffc, v4
	v_mul_f32_e32 v5, 0x2f800000, v4
	v_trunc_f32_e32 v5, v5
	v_mac_f32_e32 v4, 0xcf800000, v5
	v_cvt_u32_f32_e32 v5, v5
	v_cvt_u32_f32_e32 v4, v4
	v_mul_lo_u32 v6, s0, v5
	v_mul_hi_u32 v11, s0, v4
	v_mul_lo_u32 v13, s1, v4
	v_mul_lo_u32 v12, s0, v4
	v_add_u32_e32 v6, v11, v6
	v_add_u32_e32 v6, v6, v13
	v_mul_hi_u32 v11, v4, v12
	v_mul_lo_u32 v13, v4, v6
	v_mul_hi_u32 v15, v4, v6
	v_mul_hi_u32 v14, v5, v12
	v_mul_lo_u32 v12, v5, v12
	v_mul_hi_u32 v16, v5, v6
	v_add_co_u32_e32 v11, vcc, v11, v13
	v_addc_co_u32_e32 v13, vcc, 0, v15, vcc
	v_mul_lo_u32 v6, v5, v6
	v_add_co_u32_e32 v11, vcc, v11, v12
	v_addc_co_u32_e32 v11, vcc, v13, v14, vcc
	v_addc_co_u32_e32 v12, vcc, 0, v16, vcc
	v_add_co_u32_e32 v6, vcc, v11, v6
	v_addc_co_u32_e32 v11, vcc, 0, v12, vcc
	v_add_co_u32_e32 v4, vcc, v4, v6
	v_addc_co_u32_e32 v5, vcc, v5, v11, vcc
	v_mul_lo_u32 v6, s0, v5
	v_mul_hi_u32 v11, s0, v4
	v_mul_lo_u32 v12, s1, v4
	v_mul_lo_u32 v13, s0, v4
	v_add_u32_e32 v6, v11, v6
	v_add_u32_e32 v6, v6, v12
	v_mul_lo_u32 v14, v4, v6
	v_mul_hi_u32 v15, v4, v13
	v_mul_hi_u32 v16, v4, v6
	v_mul_hi_u32 v12, v5, v13
	v_mul_lo_u32 v13, v5, v13
	v_mul_hi_u32 v11, v5, v6
	v_add_co_u32_e32 v14, vcc, v15, v14
	v_addc_co_u32_e32 v15, vcc, 0, v16, vcc
	v_mul_lo_u32 v6, v5, v6
	v_add_co_u32_e32 v13, vcc, v14, v13
	v_addc_co_u32_e32 v12, vcc, v15, v12, vcc
	v_addc_co_u32_e32 v11, vcc, 0, v11, vcc
	v_add_co_u32_e32 v6, vcc, v12, v6
	v_addc_co_u32_e32 v11, vcc, 0, v11, vcc
	v_add_co_u32_e32 v6, vcc, v4, v6
	v_addc_co_u32_e32 v11, vcc, v5, v11, vcc
	v_mad_u64_u32 v[4:5], s[0:1], v9, v11, 0
	v_mul_hi_u32 v12, v9, v6
	v_add_co_u32_e32 v13, vcc, v12, v4
	v_addc_co_u32_e32 v14, vcc, 0, v5, vcc
	v_mad_u64_u32 v[4:5], s[0:1], v10, v6, 0
	v_mad_u64_u32 v[11:12], s[0:1], v10, v11, 0
	v_add_co_u32_e32 v4, vcc, v13, v4
	v_addc_co_u32_e32 v4, vcc, v14, v5, vcc
	v_addc_co_u32_e32 v5, vcc, 0, v12, vcc
	v_add_co_u32_e32 v11, vcc, v4, v11
	v_addc_co_u32_e32 v6, vcc, 0, v5, vcc
	v_mul_lo_u32 v12, s25, v11
	v_mul_lo_u32 v13, s24, v6
	v_mad_u64_u32 v[4:5], s[0:1], s24, v11, 0
	v_add3_u32 v5, v5, v13, v12
	v_sub_u32_e32 v12, v10, v5
	v_mov_b32_e32 v13, s25
	v_sub_co_u32_e32 v4, vcc, v9, v4
	v_subb_co_u32_e64 v12, s[0:1], v12, v13, vcc
	v_subrev_co_u32_e64 v13, s[0:1], s24, v4
	v_subbrev_co_u32_e64 v12, s[0:1], 0, v12, s[0:1]
	v_cmp_le_u32_e64 s[0:1], s25, v12
	v_cndmask_b32_e64 v14, 0, -1, s[0:1]
	v_cmp_le_u32_e64 s[0:1], s24, v13
	v_cndmask_b32_e64 v13, 0, -1, s[0:1]
	v_cmp_eq_u32_e64 s[0:1], s25, v12
	v_cndmask_b32_e64 v12, v14, v13, s[0:1]
	v_add_co_u32_e64 v13, s[0:1], 2, v11
	v_addc_co_u32_e64 v14, s[0:1], 0, v6, s[0:1]
	v_add_co_u32_e64 v15, s[0:1], 1, v11
	v_addc_co_u32_e64 v16, s[0:1], 0, v6, s[0:1]
	v_subb_co_u32_e32 v5, vcc, v10, v5, vcc
	v_cmp_ne_u32_e64 s[0:1], 0, v12
	v_cmp_le_u32_e32 vcc, s25, v5
	v_cndmask_b32_e64 v12, v16, v14, s[0:1]
	v_cndmask_b32_e64 v14, 0, -1, vcc
	v_cmp_le_u32_e32 vcc, s24, v4
	v_cndmask_b32_e64 v4, 0, -1, vcc
	v_cmp_eq_u32_e32 vcc, s25, v5
	v_cndmask_b32_e32 v4, v14, v4, vcc
	v_cmp_ne_u32_e32 vcc, 0, v4
	v_cndmask_b32_e64 v4, v15, v13, s[0:1]
	v_cndmask_b32_e32 v6, v6, v12, vcc
	v_cndmask_b32_e32 v5, v11, v4, vcc
.LBB0_4:                                ;   in Loop: Header=BB0_2 Depth=1
	s_andn2_saveexec_b64 s[0:1], s[26:27]
	s_cbranch_execz .LBB0_6
; %bb.5:                                ;   in Loop: Header=BB0_2 Depth=1
	v_cvt_f32_u32_e32 v4, s24
	s_sub_i32 s26, 0, s24
	v_rcp_iflag_f32_e32 v4, v4
	v_mul_f32_e32 v4, 0x4f7ffffe, v4
	v_cvt_u32_f32_e32 v4, v4
	v_mul_lo_u32 v5, s26, v4
	v_mul_hi_u32 v5, v4, v5
	v_add_u32_e32 v4, v4, v5
	v_mul_hi_u32 v4, v9, v4
	v_mul_lo_u32 v5, v4, s24
	v_add_u32_e32 v6, 1, v4
	v_sub_u32_e32 v5, v9, v5
	v_subrev_u32_e32 v11, s24, v5
	v_cmp_le_u32_e32 vcc, s24, v5
	v_cndmask_b32_e32 v5, v5, v11, vcc
	v_cndmask_b32_e32 v4, v4, v6, vcc
	v_add_u32_e32 v6, 1, v4
	v_cmp_le_u32_e32 vcc, s24, v5
	v_cndmask_b32_e32 v5, v4, v6, vcc
	v_mov_b32_e32 v6, v3
.LBB0_6:                                ;   in Loop: Header=BB0_2 Depth=1
	s_or_b64 exec, exec, s[0:1]
	v_mul_lo_u32 v4, v6, s24
	v_mul_lo_u32 v13, v5, s25
	v_mad_u64_u32 v[11:12], s[0:1], v5, s24, 0
	s_load_dwordx2 s[0:1], s[6:7], 0x0
	s_load_dwordx2 s[24:25], s[2:3], 0x0
	v_add3_u32 v4, v12, v13, v4
	v_sub_co_u32_e32 v9, vcc, v9, v11
	v_subb_co_u32_e32 v4, vcc, v10, v4, vcc
	s_waitcnt lgkmcnt(0)
	v_mul_lo_u32 v10, s0, v4
	v_mul_lo_u32 v11, s1, v9
	v_mad_u64_u32 v[7:8], s[0:1], s0, v9, v[7:8]
	s_add_u32 s22, s22, 1
	s_addc_u32 s23, s23, 0
	s_add_u32 s2, s2, 8
	v_mul_lo_u32 v4, s24, v4
	v_mul_lo_u32 v12, s25, v9
	v_mad_u64_u32 v[1:2], s[0:1], s24, v9, v[1:2]
	v_add3_u32 v8, v11, v8, v10
	s_addc_u32 s3, s3, 0
	v_mov_b32_e32 v9, s14
	s_add_u32 s6, s6, 8
	v_mov_b32_e32 v10, s15
	s_addc_u32 s7, s7, 0
	v_cmp_ge_u64_e32 vcc, s[22:23], v[9:10]
	s_add_u32 s20, s20, 8
	v_add3_u32 v2, v12, v2, v4
	s_addc_u32 s21, s21, 0
	s_cbranch_vccnz .LBB0_9
; %bb.7:                                ;   in Loop: Header=BB0_2 Depth=1
	v_mov_b32_e32 v10, v6
	v_mov_b32_e32 v9, v5
	s_branch .LBB0_2
.LBB0_8:
	v_mov_b32_e32 v1, v7
	v_mov_b32_e32 v5, v9
	;; [unrolled: 1-line block ×4, first 2 shown]
.LBB0_9:
	s_load_dwordx2 s[4:5], s[4:5], 0x28
	s_lshl_b64 s[6:7], s[14:15], 3
	s_add_u32 s2, s18, s6
	s_addc_u32 s3, s19, s7
                                        ; implicit-def: $vgpr3
	s_waitcnt lgkmcnt(0)
	v_cmp_gt_u64_e64 s[0:1], s[4:5], v[5:6]
	v_cmp_le_u64_e32 vcc, s[4:5], v[5:6]
	s_and_saveexec_b64 s[4:5], vcc
	s_xor_b64 s[4:5], exec, s[4:5]
; %bb.10:
	s_mov_b32 s14, 0x20c49bb
	v_mul_hi_u32 v3, v0, s14
                                        ; implicit-def: $vgpr7_vgpr8
	v_mul_u32_u24_e32 v3, 0x7d, v3
	v_sub_u32_e32 v3, v0, v3
                                        ; implicit-def: $vgpr0
; %bb.11:
	s_or_saveexec_b64 s[4:5], s[4:5]
	s_load_dwordx2 s[2:3], s[2:3], 0x0
	s_xor_b64 exec, exec, s[4:5]
	s_cbranch_execz .LBB0_15
; %bb.12:
	s_add_u32 s6, s16, s6
	s_addc_u32 s7, s17, s7
	s_load_dwordx2 s[6:7], s[6:7], 0x0
	s_mov_b32 s14, 0x20c49bb
	v_mul_hi_u32 v3, v0, s14
	v_lshlrev_b64 v[7:8], 2, v[7:8]
	s_waitcnt lgkmcnt(0)
	v_mul_lo_u32 v4, s7, v5
	v_mul_lo_u32 v11, s6, v6
	v_mad_u64_u32 v[9:10], s[6:7], s6, v5, 0
	v_mul_u32_u24_e32 v3, 0x7d, v3
	v_sub_u32_e32 v3, v0, v3
	v_add3_u32 v10, v10, v11, v4
	v_lshlrev_b64 v[9:10], 2, v[9:10]
	v_mov_b32_e32 v0, s9
	v_add_co_u32_e32 v4, vcc, s8, v9
	v_addc_co_u32_e32 v0, vcc, v0, v10, vcc
	v_add_co_u32_e32 v4, vcc, v4, v7
	v_addc_co_u32_e32 v0, vcc, v0, v8, vcc
	v_lshlrev_b32_e32 v11, 2, v3
	v_add_co_u32_e32 v7, vcc, v4, v11
	v_addc_co_u32_e32 v8, vcc, 0, v0, vcc
	s_movk_i32 s6, 0x1000
	v_add_co_u32_e32 v9, vcc, s6, v7
	global_load_dword v12, v[7:8], off
	global_load_dword v13, v[7:8], off offset:500
	global_load_dword v14, v[7:8], off offset:1000
	;; [unrolled: 1-line block ×7, first 2 shown]
	v_addc_co_u32_e32 v10, vcc, 0, v8, vcc
	global_load_dword v20, v[7:8], off offset:4000
	global_load_dword v21, v[9:10], off offset:404
	global_load_dword v22, v[9:10], off offset:904
	global_load_dword v23, v[9:10], off offset:1404
	global_load_dword v24, v[9:10], off offset:1904
	global_load_dword v25, v[9:10], off offset:2404
	global_load_dword v26, v[9:10], off offset:2904
	global_load_dword v27, v[9:10], off offset:3404
	s_movk_i32 s6, 0x7c
	v_add_u32_e32 v7, 0, v11
	v_cmp_eq_u32_e32 vcc, s6, v3
	v_add_u32_e32 v8, 0x200, v7
	v_add_u32_e32 v9, 0x600, v7
	;; [unrolled: 1-line block ×7, first 2 shown]
	s_waitcnt vmcnt(14)
	ds_write2_b32 v7, v12, v13 offset1:125
	s_waitcnt vmcnt(12)
	ds_write2_b32 v8, v14, v15 offset0:122 offset1:247
	s_waitcnt vmcnt(10)
	ds_write2_b32 v9, v16, v17 offset0:116 offset1:241
	;; [unrolled: 2-line block ×7, first 2 shown]
	s_and_saveexec_b64 s[6:7], vcc
	s_cbranch_execz .LBB0_14
; %bb.13:
	v_add_co_u32_e32 v3, vcc, 0x1000, v4
	v_addc_co_u32_e32 v4, vcc, 0, v0, vcc
	global_load_dword v0, v[3:4], off offset:3904
	v_mov_b32_e32 v3, 0
	s_waitcnt vmcnt(0)
	ds_write_b32 v3, v0 offset:8000
	v_mov_b32_e32 v3, 0x7c
.LBB0_14:
	s_or_b64 exec, exec, s[6:7]
.LBB0_15:
	s_or_b64 exec, exec, s[4:5]
	v_lshlrev_b32_e32 v4, 2, v3
	v_add_u32_e32 v0, 0, v4
	s_waitcnt lgkmcnt(0)
	s_barrier
	v_sub_u32_e32 v9, 0, v4
	ds_read_u16 v12, v0
	ds_read_u16 v13, v9 offset:8000
	s_add_u32 s6, s12, 0x1f2c
	s_addc_u32 s7, s13, 0
	v_cmp_ne_u32_e32 vcc, 0, v3
                                        ; implicit-def: $vgpr7_vgpr8
	s_waitcnt lgkmcnt(0)
	v_add_f16_e32 v10, v13, v12
	v_sub_f16_e32 v11, v12, v13
	s_and_saveexec_b64 s[4:5], vcc
	s_xor_b64 s[4:5], exec, s[4:5]
	s_cbranch_execz .LBB0_17
; %bb.16:
	v_mov_b32_e32 v4, 0
	v_lshlrev_b64 v[7:8], 2, v[3:4]
	v_mov_b32_e32 v10, s7
	v_add_co_u32_e32 v7, vcc, s6, v7
	v_addc_co_u32_e32 v8, vcc, v10, v8, vcc
	global_load_dword v7, v[7:8], off
	ds_read_u16 v8, v9 offset:8002
	ds_read_u16 v10, v0 offset:2
	v_add_f16_e32 v11, v13, v12
	v_sub_f16_e32 v12, v12, v13
	s_waitcnt lgkmcnt(0)
	v_add_f16_e32 v13, v8, v10
	v_sub_f16_e32 v8, v10, v8
	s_waitcnt vmcnt(0)
	v_lshrrev_b32_e32 v10, 16, v7
	v_fma_f16 v14, v12, v10, v11
	v_fma_f16 v15, v13, v10, v8
	v_fma_f16 v16, -v12, v10, v11
	v_fma_f16 v8, v13, v10, -v8
	v_fma_f16 v10, -v7, v13, v14
	v_fma_f16 v11, v12, v7, v15
	v_fma_f16 v13, v7, v13, v16
	;; [unrolled: 1-line block ×3, first 2 shown]
	v_pack_b32_f16 v7, v13, v7
	ds_write_b32 v9, v7 offset:8000
	v_mov_b32_e32 v8, v4
	v_mov_b32_e32 v7, v3
.LBB0_17:
	s_andn2_saveexec_b64 s[4:5], s[4:5]
	s_cbranch_execz .LBB0_19
; %bb.18:
	v_mov_b32_e32 v4, 0
	ds_read_b32 v7, v4 offset:4000
	s_mov_b32 s8, 0xc0004000
	s_waitcnt lgkmcnt(0)
	v_pk_mul_f16 v12, v7, s8
	v_mov_b32_e32 v7, 0
	v_mov_b32_e32 v8, 0
	ds_write_b32 v4, v12 offset:4000
.LBB0_19:
	s_or_b64 exec, exec, s[4:5]
	v_lshlrev_b64 v[7:8], 2, v[7:8]
	v_mov_b32_e32 v4, s7
	v_add_co_u32_e32 v7, vcc, s6, v7
	v_addc_co_u32_e32 v8, vcc, v4, v8, vcc
	global_load_dword v4, v[7:8], off offset:500
	global_load_dword v12, v[7:8], off offset:1000
	;; [unrolled: 1-line block ×4, first 2 shown]
	s_mov_b32 s6, 0x5040100
	v_perm_b32 v10, v11, v10, s6
	ds_write_b32 v0, v10
	ds_read_b32 v10, v0 offset:500
	ds_read_b32 v11, v9 offset:7500
	global_load_dword v15, v[7:8], off offset:2500
	global_load_dword v16, v[7:8], off offset:3000
	global_load_dword v17, v[7:8], off offset:3500
	s_movk_i32 s5, 0x3b9c
	s_movk_i32 s8, 0x38b4
	s_mov_b32 s7, 0xffff
	s_waitcnt lgkmcnt(0)
	v_add_f16_e32 v7, v10, v11
	v_add_f16_sdwa v8, v11, v10 dst_sel:DWORD dst_unused:UNUSED_PAD src0_sel:WORD_1 src1_sel:WORD_1
	v_sub_f16_e32 v18, v10, v11
	v_sub_f16_sdwa v10, v10, v11 dst_sel:DWORD dst_unused:UNUSED_PAD src0_sel:WORD_1 src1_sel:WORD_1
	s_movk_i32 s4, 0x34f2
	v_cmp_gt_u32_e32 vcc, 25, v3
	s_waitcnt vmcnt(6)
	v_lshrrev_b32_e32 v11, 16, v4
	v_fma_f16 v19, v18, v11, v7
	v_fma_f16 v20, v8, v11, v10
	v_fma_f16 v7, -v18, v11, v7
	v_fma_f16 v10, v8, v11, -v10
	v_fma_f16 v11, -v4, v8, v19
	v_fma_f16 v19, v18, v4, v20
	v_fma_f16 v7, v4, v8, v7
	v_fma_f16 v4, v18, v4, v10
	v_pack_b32_f16 v8, v11, v19
	v_pack_b32_f16 v4, v7, v4
	ds_write_b32 v0, v8 offset:500
	ds_write_b32 v9, v4 offset:7500
	ds_read_b32 v4, v0 offset:1000
	ds_read_b32 v7, v9 offset:7000
	s_waitcnt vmcnt(5)
	v_lshrrev_b32_e32 v8, 16, v12
	s_waitcnt lgkmcnt(0)
	v_add_f16_e32 v10, v4, v7
	v_add_f16_sdwa v11, v7, v4 dst_sel:DWORD dst_unused:UNUSED_PAD src0_sel:WORD_1 src1_sel:WORD_1
	v_sub_f16_e32 v18, v4, v7
	v_sub_f16_sdwa v4, v4, v7 dst_sel:DWORD dst_unused:UNUSED_PAD src0_sel:WORD_1 src1_sel:WORD_1
	v_fma_f16 v7, v18, v8, v10
	v_fma_f16 v19, v11, v8, v4
	v_fma_f16 v10, -v18, v8, v10
	v_fma_f16 v4, v11, v8, -v4
	v_fma_f16 v7, -v12, v11, v7
	v_fma_f16 v8, v18, v12, v19
	v_fma_f16 v10, v12, v11, v10
	v_fma_f16 v4, v18, v12, v4
	v_pack_b32_f16 v7, v7, v8
	v_pack_b32_f16 v4, v10, v4
	ds_write_b32 v0, v7 offset:1000
	ds_write_b32 v9, v4 offset:7000
	ds_read_b32 v4, v0 offset:1500
	ds_read_b32 v7, v9 offset:6500
	s_waitcnt vmcnt(4)
	v_lshrrev_b32_e32 v8, 16, v13
	s_waitcnt lgkmcnt(0)
	v_add_f16_e32 v10, v4, v7
	v_add_f16_sdwa v11, v7, v4 dst_sel:DWORD dst_unused:UNUSED_PAD src0_sel:WORD_1 src1_sel:WORD_1
	v_sub_f16_e32 v12, v4, v7
	v_sub_f16_sdwa v4, v4, v7 dst_sel:DWORD dst_unused:UNUSED_PAD src0_sel:WORD_1 src1_sel:WORD_1
	;; [unrolled: 21-line block ×6, first 2 shown]
	v_fma_f16 v7, v12, v8, v10
	v_fma_f16 v13, v11, v8, v4
	v_fma_f16 v10, -v12, v8, v10
	v_fma_f16 v4, v11, v8, -v4
	v_fma_f16 v7, -v17, v11, v7
	v_fma_f16 v8, v12, v17, v13
	v_fma_f16 v10, v17, v11, v10
	v_fma_f16 v4, v12, v17, v4
	v_pack_b32_f16 v7, v7, v8
	v_pack_b32_f16 v4, v10, v4
	v_add_u32_e32 v10, 0x600, v0
	ds_write_b32 v0, v7 offset:3500
	ds_write_b32 v9, v4 offset:4500
	s_waitcnt lgkmcnt(0)
	s_barrier
	s_barrier
	ds_read2_b32 v[17:18], v10 offset0:16 offset1:141
	v_add_u32_e32 v12, 0xc00, v0
	v_add_u32_e32 v10, 0x1200, v0
	;; [unrolled: 1-line block ×3, first 2 shown]
	ds_read2_b32 v[19:20], v12 offset0:32 offset1:157
	ds_read2_b32 v[21:22], v10 offset0:48 offset1:173
	;; [unrolled: 1-line block ×3, first 2 shown]
	ds_read2_b32 v[15:16], v0 offset1:125
	v_add_u32_e32 v4, 0x200, v0
	s_waitcnt lgkmcnt(3)
	v_pk_add_f16 v29, v18, v20 neg_lo:[0,1] neg_hi:[0,1]
	s_waitcnt lgkmcnt(2)
	v_pk_add_f16 v25, v20, v22
	s_waitcnt lgkmcnt(1)
	v_pk_add_f16 v27, v18, v24 neg_lo:[0,1] neg_hi:[0,1]
	s_waitcnt lgkmcnt(0)
	v_pk_fma_f16 v25, v25, 0.5, v16 op_sel_hi:[1,0,1] neg_lo:[1,0,0] neg_hi:[1,0,0]
	v_pk_mul_f16 v26, v27, s5 op_sel_hi:[1,0]
	v_pk_add_f16 v28, v20, v22 neg_lo:[0,1] neg_hi:[0,1]
	v_pk_add_f16 v30, v24, v22 neg_lo:[0,1] neg_hi:[0,1]
	v_pk_add_f16 v36, v29, v30
	v_pk_add_f16 v29, v25, v26 op_sel:[0,1] op_sel_hi:[1,0]
	v_pk_add_f16 v25, v25, v26 op_sel:[0,1] op_sel_hi:[1,0] neg_lo:[0,1] neg_hi:[0,1]
	v_pk_mul_f16 v26, v28, s8 op_sel_hi:[1,0]
	v_pk_add_f16 v10, v16, v18
	v_pk_add_f16 v37, v29, v26 op_sel:[0,1] op_sel_hi:[1,0]
	v_pk_add_f16 v38, v25, v26 op_sel:[0,1] op_sel_hi:[1,0] neg_lo:[0,1] neg_hi:[0,1]
	v_lshlrev_b32_e32 v7, 4, v3
	v_pk_add_f16 v10, v10, v20
	v_bfi_b32 v25, s7, v37, v38
	ds_read2_b32 v[8:9], v4 offset0:122 offset1:247
	v_add_u32_e32 v4, 0xa00, v0
	v_add_u32_e32 v7, v0, v7
	v_pk_add_f16 v10, v10, v22
	v_pk_fma_f16 v29, v36, s4, v25 op_sel_hi:[1,0,1]
	v_add_u32_e32 v25, 0x1600, v0
	v_add_u32_e32 v30, 0x1c00, v0
	ds_read2_b32 v[13:14], v4 offset0:10 offset1:135
	v_add_u32_e32 v4, 0x1000, v0
	v_pk_add_f16 v10, v10, v24
	ds_read2_b32 v[25:26], v25 offset0:42 offset1:167
	ds_read2_b32 v[32:33], v30 offset0:58 offset1:183
	;; [unrolled: 1-line block ×3, first 2 shown]
	v_add_u32_e32 v30, 0x9c4, v7
	s_waitcnt lgkmcnt(0)
	s_barrier
	ds_write2_b32 v30, v10, v29 offset1:1
	v_pk_add_f16 v10, v20, v18 neg_lo:[0,1] neg_hi:[0,1]
	v_pk_add_f16 v18, v18, v24
	v_pk_add_f16 v20, v22, v24 neg_lo:[0,1] neg_hi:[0,1]
	v_pk_fma_f16 v16, v18, 0.5, v16 op_sel_hi:[1,0,1] neg_lo:[1,0,0] neg_hi:[1,0,0]
	v_pk_mul_f16 v18, v28, s5 op_sel_hi:[1,0]
	v_pk_add_f16 v10, v10, v20
	v_pk_add_f16 v20, v16, v18 op_sel:[0,1] op_sel_hi:[1,0] neg_lo:[0,1] neg_hi:[0,1]
	v_pk_add_f16 v16, v16, v18 op_sel:[0,1] op_sel_hi:[1,0]
	v_pk_mul_f16 v18, v27, s8 op_sel_hi:[1,0]
	v_pk_add_f16 v20, v20, v18 op_sel:[0,1] op_sel_hi:[1,0]
	v_pk_add_f16 v16, v16, v18 op_sel:[0,1] op_sel_hi:[1,0] neg_lo:[0,1] neg_hi:[0,1]
	v_bfi_b32 v18, s7, v20, v16
	v_bfi_b32 v16, s7, v16, v20
	v_pk_fma_f16 v18, v10, s4, v18 op_sel_hi:[1,0,1]
	v_pk_fma_f16 v10, v10, s4, v16 op_sel_hi:[1,0,1]
	v_add_u32_e32 v16, 0x9cc, v7
	ds_write2_b32 v16, v18, v10 offset1:1
	v_pk_add_f16 v10, v13, v34 neg_lo:[0,1] neg_hi:[0,1]
	v_pk_add_f16 v16, v32, v25 neg_lo:[0,1] neg_hi:[0,1]
	v_pk_add_f16 v10, v10, v16
	v_pk_add_f16 v16, v34, v25
	v_pk_add_f16 v18, v13, v32 neg_lo:[0,1] neg_hi:[0,1]
	v_pk_fma_f16 v16, v16, 0.5, v8 op_sel_hi:[1,0,1] neg_lo:[1,0,0] neg_hi:[1,0,0]
	v_pk_mul_f16 v20, v18, s5 op_sel_hi:[1,0]
	v_pk_add_f16 v22, v16, v20 op_sel:[0,1] op_sel_hi:[1,0]
	v_pk_add_f16 v16, v16, v20 op_sel:[0,1] op_sel_hi:[1,0] neg_lo:[0,1] neg_hi:[0,1]
	v_pk_add_f16 v20, v34, v25 neg_lo:[0,1] neg_hi:[0,1]
	v_pk_mul_f16 v24, v20, s8 op_sel_hi:[1,0]
	v_pk_add_f16 v22, v22, v24 op_sel:[0,1] op_sel_hi:[1,0]
	v_pk_add_f16 v16, v16, v24 op_sel:[0,1] op_sel_hi:[1,0] neg_lo:[0,1] neg_hi:[0,1]
	v_pk_add_f16 v24, v8, v13
	v_pk_add_f16 v24, v24, v34
	;; [unrolled: 1-line block ×3, first 2 shown]
	v_bfi_b32 v27, s7, v22, v16
	v_pk_add_f16 v24, v24, v32
	v_pk_fma_f16 v27, v10, s4, v27 op_sel_hi:[1,0,1]
	v_add_u32_e32 v28, 0x1388, v7
	ds_write2_b32 v28, v24, v27 offset1:1
	v_pk_add_f16 v24, v15, v17
	v_pk_add_f16 v24, v24, v19
	;; [unrolled: 1-line block ×3, first 2 shown]
	v_pk_add_f16 v30, v17, v23 neg_lo:[0,1] neg_hi:[0,1]
	v_pk_add_f16 v24, v24, v21
	v_pk_add_f16 v28, v19, v21 neg_lo:[0,1] neg_hi:[0,1]
	v_pk_add_f16 v29, v17, v19 neg_lo:[0,1] neg_hi:[0,1]
	;; [unrolled: 1-line block ×3, first 2 shown]
	v_pk_add_f16 v17, v17, v23
	v_pk_add_f16 v31, v23, v21 neg_lo:[0,1] neg_hi:[0,1]
	v_pk_add_f16 v21, v21, v23 neg_lo:[0,1] neg_hi:[0,1]
	v_pk_add_f16 v23, v24, v23
	v_pk_fma_f16 v24, v27, 0.5, v15 op_sel_hi:[1,0,1] neg_lo:[1,0,0] neg_hi:[1,0,0]
	v_pk_mul_f16 v27, v30, s5 op_sel_hi:[1,0]
	v_pk_fma_f16 v15, v17, 0.5, v15 op_sel_hi:[1,0,1] neg_lo:[1,0,0] neg_hi:[1,0,0]
	v_pk_add_f16 v17, v29, v31
	v_pk_add_f16 v29, v24, v27 op_sel:[0,1] op_sel_hi:[1,0]
	v_pk_add_f16 v24, v24, v27 op_sel:[0,1] op_sel_hi:[1,0] neg_lo:[0,1] neg_hi:[0,1]
	v_pk_mul_f16 v27, v28, s8 op_sel_hi:[1,0]
	v_pk_add_f16 v39, v29, v27 op_sel:[0,1] op_sel_hi:[1,0]
	v_pk_add_f16 v24, v24, v27 op_sel:[0,1] op_sel_hi:[1,0] neg_lo:[0,1] neg_hi:[0,1]
	v_bfi_b32 v27, s7, v39, v24
	v_pk_fma_f16 v27, v17, s4, v27 op_sel_hi:[1,0,1]
	v_pk_add_f16 v19, v19, v21
	v_pk_mul_f16 v21, v28, s5 op_sel_hi:[1,0]
	ds_write2_b32 v7, v23, v27 offset1:1
	v_pk_add_f16 v23, v15, v21 op_sel:[0,1] op_sel_hi:[1,0] neg_lo:[0,1] neg_hi:[0,1]
	v_pk_add_f16 v15, v15, v21 op_sel:[0,1] op_sel_hi:[1,0]
	v_pk_mul_f16 v21, v30, s8 op_sel_hi:[1,0]
	v_pk_add_f16 v23, v23, v21 op_sel:[0,1] op_sel_hi:[1,0]
	v_pk_add_f16 v15, v15, v21 op_sel:[0,1] op_sel_hi:[1,0] neg_lo:[0,1] neg_hi:[0,1]
	v_bfi_b32 v21, s7, v23, v15
	v_bfi_b32 v15, s7, v15, v23
	v_pk_fma_f16 v21, v19, s4, v21 op_sel_hi:[1,0,1]
	v_pk_fma_f16 v15, v19, s4, v15 op_sel_hi:[1,0,1]
	ds_write2_b32 v7, v21, v15 offset0:2 offset1:3
	v_pk_add_f16 v21, v13, v32
	v_pk_fma_f16 v8, v21, 0.5, v8 op_sel_hi:[1,0,1] neg_lo:[1,0,0] neg_hi:[1,0,0]
	v_pk_add_f16 v21, v35, v14 neg_lo:[0,1] neg_hi:[0,1]
	v_pk_add_f16 v23, v26, v33 neg_lo:[0,1] neg_hi:[0,1]
	v_pk_add_f16 v15, v14, v33
	v_pk_add_f16 v21, v21, v23
	v_pk_add_f16 v23, v35, v26 neg_lo:[0,1] neg_hi:[0,1]
	v_pk_fma_f16 v15, v15, 0.5, v9 op_sel_hi:[1,0,1] neg_lo:[1,0,0] neg_hi:[1,0,0]
	v_pk_mul_f16 v27, v23, s5 op_sel_hi:[1,0]
	v_pk_add_f16 v28, v15, v27 op_sel:[0,1] op_sel_hi:[1,0] neg_lo:[0,1] neg_hi:[0,1]
	v_pk_add_f16 v15, v27, v15 op_sel:[1,0] op_sel_hi:[0,1]
	v_pk_add_f16 v27, v14, v33 neg_lo:[0,1] neg_hi:[0,1]
	v_pk_add_f16 v19, v35, v26
	v_pk_mul_f16 v29, v27, s8 op_sel_hi:[1,0]
	v_pk_fma_f16 v19, v19, 0.5, v9 op_sel_hi:[1,0,1] neg_lo:[1,0,0] neg_hi:[1,0,0]
	v_pk_add_f16 v9, v9, v14
	v_pk_add_f16 v30, v29, v28 op_sel:[1,0] op_sel_hi:[0,1]
	v_pk_add_f16 v14, v14, v35 neg_lo:[0,1] neg_hi:[0,1]
	v_pk_add_f16 v28, v33, v26 neg_lo:[0,1] neg_hi:[0,1]
	v_pk_mul_f16 v27, v27, s5 op_sel_hi:[1,0]
	v_pk_add_f16 v14, v14, v28
	v_pk_add_f16 v28, v19, v27 op_sel:[0,1] op_sel_hi:[1,0] neg_lo:[0,1] neg_hi:[0,1]
	v_pk_add_f16 v19, v19, v27 op_sel:[0,1] op_sel_hi:[1,0]
	v_pk_mul_f16 v23, v23, s8 op_sel_hi:[1,0]
	v_pk_add_f16 v19, v19, v23 op_sel:[0,1] op_sel_hi:[1,0]
	v_pk_add_f16 v23, v28, v23 op_sel:[0,1] op_sel_hi:[1,0] neg_lo:[0,1] neg_hi:[0,1]
	v_bfi_b32 v27, s7, v19, v23
	v_bfi_b32 v19, s7, v23, v19
	v_pk_fma_f16 v28, v14, s4, v27 op_sel_hi:[1,0,1]
	v_pk_fma_f16 v31, v14, s4, v19 op_sel_hi:[1,0,1]
	v_bfi_b32 v14, s7, v24, v39
	v_pk_add_f16 v15, v15, v29 op_sel:[0,1] op_sel_hi:[1,0] neg_lo:[0,1] neg_hi:[0,1]
	v_pk_fma_f16 v14, v17, s4, v14 op_sel_hi:[1,0,1]
	v_pk_fma_f16 v29, v21, s4, v30 op_sel_hi:[1,0,1]
	;; [unrolled: 1-line block ×3, first 2 shown]
	v_bfi_b32 v15, s7, v38, v37
	ds_write_b32 v7, v14 offset:16
	v_pk_add_f16 v13, v34, v13 neg_lo:[0,1] neg_hi:[0,1]
	v_pk_add_f16 v14, v25, v32 neg_lo:[0,1] neg_hi:[0,1]
	v_pk_fma_f16 v15, v36, s4, v15 op_sel_hi:[1,0,1]
	v_pk_add_f16 v13, v13, v14
	v_pk_mul_f16 v14, v20, s5 op_sel_hi:[1,0]
	ds_write_b32 v7, v15 offset:2516
	v_pk_mul_f16 v15, v18, s8 op_sel_hi:[1,0]
	v_pk_add_f16 v17, v8, v14 op_sel:[0,1] op_sel_hi:[1,0] neg_lo:[0,1] neg_hi:[0,1]
	v_pk_add_f16 v8, v8, v14 op_sel:[0,1] op_sel_hi:[1,0]
	v_pk_add_f16 v9, v9, v35
	v_pk_add_f16 v14, v17, v15 op_sel:[0,1] op_sel_hi:[1,0]
	v_pk_add_f16 v8, v8, v15 op_sel:[0,1] op_sel_hi:[1,0] neg_lo:[0,1] neg_hi:[0,1]
	v_pk_add_f16 v9, v9, v26
	v_bfi_b32 v15, s7, v14, v8
	v_bfi_b32 v8, s7, v8, v14
	v_pk_add_f16 v21, v9, v33
	v_add_u32_e32 v9, 0x1390, v7
	v_pk_fma_f16 v15, v13, s4, v15 op_sel_hi:[1,0,1]
	v_pk_fma_f16 v8, v13, s4, v8 op_sel_hi:[1,0,1]
	ds_write2_b32 v9, v15, v8 offset1:1
	v_bfi_b32 v8, s7, v16, v22
	v_lshrrev_b32_e32 v35, 16, v29
	v_pk_fma_f16 v8, v10, s4, v8 op_sel_hi:[1,0,1]
	ds_write_b32 v7, v8 offset:5016
	s_and_saveexec_b64 s[4:5], vcc
	s_cbranch_execz .LBB0_21
; %bb.20:
	v_add_u32_e32 v8, 0x1d4c, v7
	ds_write2_b32 v8, v21, v28 offset1:1
	v_add_u32_e32 v8, 0x1d54, v7
	v_bfi_b32 v9, s7, v29, v30
	v_perm_b32 v10, v35, v30, s6
	ds_write2_b32 v8, v9, v10 offset1:1
	ds_write_b32 v7, v31 offset:7516
.LBB0_21:
	s_or_b64 exec, exec, s[4:5]
	v_add_u32_e32 v7, 0x300, v0
	s_waitcnt lgkmcnt(0)
	s_barrier
	ds_read2_b32 v[9:10], v0 offset1:125
	ds_read2_b32 v[7:8], v7 offset0:58 offset1:208
	ds_read2_b32 v[15:16], v12 offset0:32 offset1:157
	;; [unrolled: 1-line block ×4, first 2 shown]
	v_add_u32_e32 v4, 0x800, v0
	ds_read2_b32 v[17:18], v4 offset0:13 offset1:138
	v_add_u32_e32 v4, 0x1400, v0
	ds_read2_b32 v[19:20], v4 offset0:45 offset1:170
	ds_read_b32 v44, v0 offset:7400
	v_lshrrev_b32_e32 v38, 16, v31
	s_and_saveexec_b64 s[4:5], vcc
	s_cbranch_execz .LBB0_23
; %bb.22:
	ds_read_b32 v4, v0 offset:6300
	ds_read_b32 v31, v0 offset:7900
	;; [unrolled: 1-line block ×5, first 2 shown]
	s_mov_b32 s6, 0xffff
	s_waitcnt lgkmcnt(4)
	v_lshrrev_b32_e32 v35, 16, v4
	s_waitcnt lgkmcnt(3)
	v_lshrrev_b32_e32 v38, 16, v31
	s_waitcnt lgkmcnt(2)
	v_bfi_b32 v30, s6, v4, v29
.LBB0_23:
	s_or_b64 exec, exec, s[4:5]
	v_add_u32_e32 v4, 0x177, v3
	s_mov_b32 s4, 0xcccd
	v_mul_u32_u24_sdwa v22, v4, s4 dst_sel:DWORD dst_unused:UNUSED_PAD src0_sel:WORD_0 src1_sel:DWORD
	v_lshrrev_b32_e32 v24, 18, v22
	v_mul_lo_u16_e32 v22, 5, v24
	v_sub_u16_e32 v25, v4, v22
	v_lshlrev_b32_e32 v22, 4, v25
	s_movk_i32 s5, 0xcd
	v_add_u16_e32 v23, 0x7d, v3
	global_load_dwordx4 v[39:42], v22, s[12:13]
	v_mul_lo_u16_sdwa v22, v23, s5 dst_sel:DWORD dst_unused:UNUSED_PAD src0_sel:BYTE_0 src1_sel:DWORD
	v_lshrrev_b16_e32 v36, 10, v22
	v_mul_lo_u16_e32 v22, 5, v36
	v_mov_b32_e32 v53, 4
	v_sub_u16_e32 v37, v23, v22
	v_lshlrev_b32_sdwa v22, v53, v37 dst_sel:DWORD dst_unused:UNUSED_PAD src0_sel:DWORD src1_sel:BYTE_0
	global_load_dwordx4 v[45:48], v22, s[12:13]
	v_add_u32_e32 v22, 0xfa, v3
	v_mul_u32_u24_sdwa v26, v22, s4 dst_sel:DWORD dst_unused:UNUSED_PAD src0_sel:WORD_0 src1_sel:DWORD
	v_lshrrev_b32_e32 v26, 18, v26
	v_mul_lo_u16_e32 v27, 5, v26
	v_sub_u16_e32 v27, v22, v27
	v_lshlrev_b32_e32 v32, 4, v27
	global_load_dwordx4 v[49:52], v32, s[12:13]
	s_waitcnt lgkmcnt(0)
	v_lshrrev_b32_e32 v33, 16, v28
	v_lshrrev_b32_e32 v34, 16, v30
	;; [unrolled: 1-line block ×7, first 2 shown]
	s_mov_b32 s7, 0xbb9c
	s_movk_i32 s4, 0x38b4
	s_mov_b32 s8, 0xb8b4
	s_movk_i32 s6, 0x34f2
	v_mul_u32_u24_e32 v36, 0x64, v36
	s_waitcnt vmcnt(2)
	v_mul_f16_sdwa v32, v33, v39 dst_sel:DWORD dst_unused:UNUSED_PAD src0_sel:DWORD src1_sel:WORD_1
	v_fma_f16 v32, v28, v39, -v32
	v_mul_f16_sdwa v28, v28, v39 dst_sel:DWORD dst_unused:UNUSED_PAD src0_sel:DWORD src1_sel:WORD_1
	v_fma_f16 v28, v33, v39, v28
	v_mul_f16_sdwa v33, v34, v40 dst_sel:DWORD dst_unused:UNUSED_PAD src0_sel:DWORD src1_sel:WORD_1
	v_fma_f16 v33, v29, v40, -v33
	v_mul_f16_sdwa v29, v29, v40 dst_sel:DWORD dst_unused:UNUSED_PAD src0_sel:DWORD src1_sel:WORD_1
	v_fma_f16 v29, v34, v40, v29
	v_mul_f16_sdwa v34, v35, v41 dst_sel:DWORD dst_unused:UNUSED_PAD src0_sel:DWORD src1_sel:WORD_1
	v_fma_f16 v34, v30, v41, -v34
	v_mul_f16_sdwa v30, v30, v41 dst_sel:DWORD dst_unused:UNUSED_PAD src0_sel:DWORD src1_sel:WORD_1
	v_fma_f16 v30, v35, v41, v30
	v_mul_f16_sdwa v35, v38, v42 dst_sel:DWORD dst_unused:UNUSED_PAD src0_sel:DWORD src1_sel:WORD_1
	v_fma_f16 v35, v31, v42, -v35
	v_mul_f16_sdwa v31, v31, v42 dst_sel:DWORD dst_unused:UNUSED_PAD src0_sel:DWORD src1_sel:WORD_1
	v_fma_f16 v31, v38, v42, v31
	s_waitcnt vmcnt(1)
	v_mul_f16_sdwa v38, v45, v17 dst_sel:DWORD dst_unused:UNUSED_PAD src0_sel:WORD_1 src1_sel:DWORD
	v_mul_f16_sdwa v42, v45, v43 dst_sel:DWORD dst_unused:UNUSED_PAD src0_sel:WORD_1 src1_sel:DWORD
	;; [unrolled: 1-line block ×4, first 2 shown]
	v_fma_f16 v38, v45, v43, v38
	v_fma_f16 v17, v45, v17, -v42
	v_lshrrev_b32_e32 v45, 16, v20
	v_fma_f16 v39, v46, v54, v39
	v_mul_f16_sdwa v43, v47, v55 dst_sel:DWORD dst_unused:UNUSED_PAD src0_sel:WORD_1 src1_sel:DWORD
	v_mul_f16_sdwa v41, v12, v48 dst_sel:DWORD dst_unused:UNUSED_PAD src0_sel:DWORD src1_sel:WORD_1
	v_mul_f16_sdwa v54, v56, v48 dst_sel:DWORD dst_unused:UNUSED_PAD src0_sel:DWORD src1_sel:WORD_1
	v_fma_f16 v42, v46, v16, -v58
	s_waitcnt vmcnt(0)
	v_mul_f16_sdwa v16, v45, v51 dst_sel:DWORD dst_unused:UNUSED_PAD src0_sel:DWORD src1_sel:WORD_1
	v_mul_f16_sdwa v40, v47, v19 dst_sel:DWORD dst_unused:UNUSED_PAD src0_sel:WORD_1 src1_sel:DWORD
	v_fma_f16 v41, v56, v48, v41
	v_fma_f16 v19, v47, v19, -v43
	v_fma_f16 v43, v12, v48, -v54
	v_lshrrev_b32_e32 v46, 16, v44
	v_mul_f16_sdwa v12, v57, v49 dst_sel:DWORD dst_unused:UNUSED_PAD src0_sel:DWORD src1_sel:WORD_1
	v_fma_f16 v16, v20, v51, -v16
	v_mul_f16_sdwa v20, v20, v51 dst_sel:DWORD dst_unused:UNUSED_PAD src0_sel:DWORD src1_sel:WORD_1
	v_mul_lo_u16_sdwa v48, v3, s5 dst_sel:DWORD dst_unused:UNUSED_PAD src0_sel:BYTE_0 src1_sel:DWORD
	v_fma_f16 v12, v18, v49, -v12
	v_mul_f16_sdwa v18, v18, v49 dst_sel:DWORD dst_unused:UNUSED_PAD src0_sel:DWORD src1_sel:WORD_1
	v_lshrrev_b16_e32 v48, 10, v48
	v_fma_f16 v20, v45, v51, v20
	v_mul_f16_sdwa v45, v46, v52 dst_sel:DWORD dst_unused:UNUSED_PAD src0_sel:DWORD src1_sel:WORD_1
	v_fma_f16 v18, v57, v49, v18
	v_mul_lo_u16_e32 v49, 5, v48
	v_fma_f16 v51, v44, v52, -v45
	v_mul_f16_sdwa v44, v44, v52 dst_sel:DWORD dst_unused:UNUSED_PAD src0_sel:DWORD src1_sel:WORD_1
	v_fma_f16 v40, v47, v55, v40
	v_lshrrev_b32_e32 v47, 16, v13
	v_sub_u16_e32 v49, v3, v49
	v_fma_f16 v52, v46, v52, v44
	v_mul_f16_sdwa v44, v13, v50 dst_sel:DWORD dst_unused:UNUSED_PAD src0_sel:DWORD src1_sel:WORD_1
	v_lshlrev_b32_sdwa v53, v53, v49 dst_sel:DWORD dst_unused:UNUSED_PAD src0_sel:DWORD src1_sel:BYTE_0
	v_fma_f16 v54, v47, v50, v44
	v_mul_f16_sdwa v44, v47, v50 dst_sel:DWORD dst_unused:UNUSED_PAD src0_sel:DWORD src1_sel:WORD_1
	v_fma_f16 v13, v13, v50, -v44
	global_load_dwordx4 v[44:47], v53, s[12:13]
	v_lshrrev_b32_e32 v50, 16, v15
	v_mul_u32_u24_e32 v48, 0x64, v48
	v_lshrrev_b32_e32 v56, 16, v9
	s_movk_i32 s5, 0x3b9c
	s_waitcnt vmcnt(0)
	s_barrier
	v_mul_f16_sdwa v53, v45, v50 dst_sel:DWORD dst_unused:UNUSED_PAD src0_sel:WORD_1 src1_sel:DWORD
	v_fma_f16 v53, v45, v15, -v53
	v_mul_f16_sdwa v15, v45, v15 dst_sel:DWORD dst_unused:UNUSED_PAD src0_sel:WORD_1 src1_sel:DWORD
	v_fma_f16 v15, v45, v50, v15
	v_lshrrev_b32_e32 v45, 16, v14
	v_mul_f16_sdwa v50, v46, v45 dst_sel:DWORD dst_unused:UNUSED_PAD src0_sel:WORD_1 src1_sel:DWORD
	v_fma_f16 v50, v46, v14, -v50
	v_mul_f16_sdwa v14, v46, v14 dst_sel:DWORD dst_unused:UNUSED_PAD src0_sel:WORD_1 src1_sel:DWORD
	v_fma_f16 v14, v46, v45, v14
	v_lshrrev_b32_e32 v45, 16, v11
	;; [unrolled: 5-line block ×3, first 2 shown]
	v_mul_f16_sdwa v47, v44, v8 dst_sel:DWORD dst_unused:UNUSED_PAD src0_sel:WORD_1 src1_sel:DWORD
	v_fma_f16 v47, v44, v45, v47
	v_mul_f16_sdwa v45, v44, v45 dst_sel:DWORD dst_unused:UNUSED_PAD src0_sel:WORD_1 src1_sel:DWORD
	v_fma_f16 v8, v44, v8, -v45
	v_sub_f16_e32 v44, v8, v53
	v_sub_f16_e32 v45, v46, v50
	v_add_f16_e32 v44, v44, v45
	v_sub_f16_e32 v45, v47, v15
	v_sub_f16_e32 v55, v11, v14
	v_add_f16_e32 v45, v45, v55
	v_mov_b32_e32 v55, 2
	v_lshlrev_b32_sdwa v49, v55, v49 dst_sel:DWORD dst_unused:UNUSED_PAD src0_sel:DWORD src1_sel:BYTE_0
	v_add3_u32 v48, 0, v48, v49
	v_add_f16_e32 v49, v9, v8
	v_add_f16_e32 v57, v56, v47
	;; [unrolled: 1-line block ×8, first 2 shown]
	v_pack_b32_f16 v49, v49, v57
	v_add_f16_e32 v57, v53, v50
	v_add_f16_e32 v61, v15, v14
	v_fma_f16 v57, v57, -0.5, v9
	v_sub_f16_e32 v58, v47, v11
	v_fma_f16 v61, v61, -0.5, v56
	v_sub_f16_e32 v62, v8, v46
	v_fma_f16 v59, v58, s5, v57
	v_sub_f16_e32 v60, v15, v14
	v_fma_f16 v63, v62, s7, v61
	;; [unrolled: 2-line block ×3, first 2 shown]
	v_fma_f16 v63, v64, s8, v63
	v_fma_f16 v59, v44, s6, v59
	;; [unrolled: 1-line block ×3, first 2 shown]
	v_pack_b32_f16 v59, v59, v63
	ds_write2_b32 v48, v49, v59 offset1:5
	v_sub_f16_e32 v49, v53, v8
	v_add_f16_e32 v8, v8, v46
	v_fma_f16 v8, v8, -0.5, v9
	v_sub_f16_e32 v46, v50, v46
	v_fma_f16 v9, v60, s7, v8
	v_fma_f16 v8, v60, s5, v8
	v_add_f16_e32 v46, v49, v46
	v_fma_f16 v9, v58, s4, v9
	v_fma_f16 v8, v58, s8, v8
	;; [unrolled: 1-line block ×4, first 2 shown]
	v_add_f16_e32 v46, v47, v11
	v_fma_f16 v46, v46, -0.5, v56
	v_sub_f16_e32 v15, v15, v47
	v_sub_f16_e32 v11, v14, v11
	v_add_f16_e32 v11, v15, v11
	v_fma_f16 v14, v64, s5, v46
	v_fma_f16 v15, v64, s7, v46
	v_fma_f16 v14, v62, s8, v14
	v_fma_f16 v15, v62, s4, v15
	v_fma_f16 v14, v11, s6, v14
	v_fma_f16 v11, v11, s6, v15
	v_pack_b32_f16 v9, v9, v14
	v_pack_b32_f16 v8, v8, v11
	ds_write2_b32 v48, v9, v8 offset0:10 offset1:15
	v_fma_f16 v8, v58, s7, v57
	v_fma_f16 v9, v62, s5, v61
	;; [unrolled: 1-line block ×6, first 2 shown]
	v_pack_b32_f16 v8, v8, v9
	ds_write_b32 v48, v8 offset:80
	v_lshlrev_b32_sdwa v8, v55, v37 dst_sel:DWORD dst_unused:UNUSED_PAD src0_sel:DWORD src1_sel:BYTE_0
	v_add_f16_e32 v9, v42, v19
	v_add_f16_e32 v11, v17, v43
	v_lshrrev_b32_e32 v14, 16, v10
	v_fma_f16 v9, v9, -0.5, v10
	v_fma_f16 v11, v11, -0.5, v10
	v_add_f16_e32 v10, v10, v17
	v_add3_u32 v8, 0, v36, v8
	v_add_f16_e32 v36, v14, v38
	v_add_f16_e32 v10, v10, v42
	;; [unrolled: 1-line block ×5, first 2 shown]
	v_sub_f16_e32 v15, v17, v42
	v_sub_f16_e32 v37, v43, v19
	v_add_f16_e32 v10, v10, v43
	v_add_f16_e32 v36, v36, v41
	;; [unrolled: 1-line block ×4, first 2 shown]
	v_sub_f16_e32 v37, v38, v39
	v_sub_f16_e32 v44, v41, v40
	v_pack_b32_f16 v10, v10, v36
	v_sub_f16_e32 v36, v38, v41
	v_fma_f16 v46, v46, -0.5, v14
	v_sub_f16_e32 v47, v17, v43
	v_add_f16_e32 v37, v37, v44
	v_fma_f16 v44, v36, s5, v9
	v_sub_f16_e32 v45, v39, v40
	v_fma_f16 v48, v47, s7, v46
	v_sub_f16_e32 v49, v42, v19
	v_fma_f16 v44, v45, s4, v44
	v_fma_f16 v48, v49, s8, v48
	v_fma_f16 v44, v15, s6, v44
	v_fma_f16 v48, v37, s6, v48
	v_pack_b32_f16 v44, v44, v48
	v_fma_f16 v9, v36, s7, v9
	ds_write2_b32 v8, v10, v44 offset1:5
	v_fma_f16 v9, v45, s8, v9
	v_sub_f16_e32 v10, v42, v17
	v_add_f16_e32 v17, v38, v41
	v_fma_f16 v9, v15, s6, v9
	v_sub_f16_e32 v15, v19, v43
	v_fma_f16 v14, v17, -0.5, v14
	v_sub_f16_e32 v17, v39, v38
	v_sub_f16_e32 v19, v40, v41
	v_add_f16_e32 v17, v17, v19
	v_fma_f16 v19, v49, s5, v14
	v_fma_f16 v14, v49, s7, v14
	;; [unrolled: 1-line block ×6, first 2 shown]
	v_add_f16_e32 v17, v13, v16
	v_sub_f16_e32 v38, v12, v13
	v_sub_f16_e32 v39, v51, v16
	v_add_f16_e32 v10, v10, v15
	v_fma_f16 v15, v45, s7, v11
	v_fma_f16 v11, v45, s5, v11
	v_fma_f16 v17, v17, -0.5, v7
	v_add_f16_e32 v38, v38, v39
	v_sub_f16_e32 v39, v18, v52
	v_fma_f16 v15, v36, s4, v15
	v_fma_f16 v11, v36, s8, v11
	;; [unrolled: 1-line block ×3, first 2 shown]
	v_sub_f16_e32 v41, v54, v20
	v_fma_f16 v17, v39, s7, v17
	v_fma_f16 v15, v10, s6, v15
	;; [unrolled: 1-line block ×4, first 2 shown]
	v_add_f16_e32 v36, v12, v51
	v_fma_f16 v40, v41, s4, v40
	v_fma_f16 v17, v41, s8, v17
	;; [unrolled: 1-line block ×3, first 2 shown]
	v_fma_f16 v36, v36, -0.5, v7
	v_fma_f16 v42, v38, s6, v40
	v_fma_f16 v17, v38, s6, v17
	v_sub_f16_e32 v38, v13, v12
	v_sub_f16_e32 v40, v16, v51
	v_fma_f16 v11, v37, s6, v11
	v_lshrrev_b32_e32 v37, 16, v7
	v_add_f16_e32 v7, v7, v12
	v_add_f16_e32 v38, v38, v40
	v_fma_f16 v40, v41, s7, v36
	v_fma_f16 v36, v41, s5, v36
	;; [unrolled: 1-line block ×3, first 2 shown]
	v_add_f16_e32 v7, v7, v13
	v_fma_f16 v43, v38, s6, v36
	v_add_f16_e32 v7, v7, v16
	v_sub_f16_e32 v13, v13, v16
	v_sub_f16_e32 v16, v18, v54
	;; [unrolled: 1-line block ×3, first 2 shown]
	v_add_f16_e32 v16, v16, v36
	v_add_f16_e32 v36, v54, v20
	v_fma_f16 v40, v39, s4, v40
	v_sub_f16_e32 v12, v12, v51
	v_fma_f16 v36, v36, -0.5, v37
	v_fma_f16 v41, v38, s6, v40
	v_fma_f16 v38, v12, s7, v36
	;; [unrolled: 1-line block ×7, first 2 shown]
	v_add_f16_e32 v36, v18, v52
	v_fma_f16 v36, v36, -0.5, v37
	v_add_f16_e32 v37, v37, v18
	v_add_f16_e32 v37, v37, v54
	v_sub_f16_e32 v18, v54, v18
	v_add_f16_e32 v37, v37, v20
	v_sub_f16_e32 v20, v20, v52
	v_add_f16_e32 v18, v18, v20
	v_fma_f16 v20, v13, s5, v36
	v_fma_f16 v13, v13, s7, v36
	;; [unrolled: 1-line block ×6, first 2 shown]
	v_sub_f16_e32 v18, v32, v33
	v_sub_f16_e32 v20, v35, v34
	v_add_f16_e32 v18, v18, v20
	v_add_f16_e32 v20, v33, v34
	v_fma_f16 v20, v20, -0.5, v21
	v_sub_f16_e32 v36, v28, v31
	v_add_f16_e32 v45, v37, v52
	v_fma_f16 v37, v36, s5, v20
	v_sub_f16_e32 v39, v29, v30
	v_fma_f16 v20, v36, s7, v20
	v_fma_f16 v37, v39, s4, v37
	;; [unrolled: 1-line block ×5, first 2 shown]
	v_sub_f16_e32 v18, v33, v32
	v_sub_f16_e32 v20, v34, v35
	v_add_f16_e32 v18, v18, v20
	v_add_f16_e32 v20, v32, v35
	v_fma_f16 v20, v20, -0.5, v21
	v_fma_f16 v40, v39, s7, v20
	v_fma_f16 v20, v39, s5, v20
	;; [unrolled: 1-line block ×6, first 2 shown]
	v_add_f16_e32 v18, v21, v32
	v_add_f16_e32 v18, v18, v33
	;; [unrolled: 1-line block ×4, first 2 shown]
	v_sub_f16_e32 v18, v32, v35
	v_sub_f16_e32 v20, v33, v34
	;; [unrolled: 1-line block ×4, first 2 shown]
	v_add_f16_e32 v33, v32, v33
	v_lshrrev_b32_e32 v21, 16, v21
	v_add_f16_e32 v32, v29, v30
	v_fma_f16 v34, v32, -0.5, v21
	v_fma_f16 v32, v18, s7, v34
	v_fma_f16 v34, v18, s5, v34
	;; [unrolled: 1-line block ×6, first 2 shown]
	v_add_f16_e32 v34, v28, v31
	v_fma_f16 v34, v34, -0.5, v21
	v_add_f16_e32 v21, v21, v28
	v_add_f16_e32 v21, v21, v29
	v_sub_f16_e32 v28, v29, v28
	v_sub_f16_e32 v29, v30, v31
	v_add_f16_e32 v29, v28, v29
	v_fma_f16 v28, v20, s5, v34
	v_fma_f16 v20, v20, s7, v34
	;; [unrolled: 1-line block ×4, first 2 shown]
	v_pack_b32_f16 v15, v15, v19
	v_pack_b32_f16 v10, v10, v14
	;; [unrolled: 1-line block ×3, first 2 shown]
	v_add_f16_e32 v7, v7, v51
	v_fma_f16 v28, v29, s6, v28
	v_fma_f16 v29, v29, s6, v18
	v_lshlrev_b32_e32 v18, 2, v27
	ds_write2_b32 v8, v15, v10 offset0:10 offset1:15
	ds_write_b32 v8, v9 offset:80
	v_mul_u32_u24_e32 v8, 0x64, v26
	v_add3_u32 v8, 0, v8, v18
	v_pack_b32_f16 v7, v7, v45
	v_pack_b32_f16 v9, v42, v44
	v_add_f16_e32 v21, v21, v30
	ds_write2_b32 v8, v7, v9 offset1:5
	v_pack_b32_f16 v7, v41, v13
	v_pack_b32_f16 v9, v43, v12
	v_add_f16_e32 v21, v21, v31
	ds_write2_b32 v8, v7, v9 offset0:10 offset1:15
	v_pack_b32_f16 v7, v17, v16
	ds_write_b32 v8, v7 offset:80
	s_and_saveexec_b64 s[4:5], vcc
	s_cbranch_execz .LBB0_25
; %bb.24:
	v_mul_lo_u16_e32 v7, 25, v24
	v_lshlrev_b32_e32 v8, 2, v25
	v_lshlrev_b32_e32 v7, 2, v7
	s_mov_b32 s6, 0x5040100
	v_add3_u32 v7, 0, v8, v7
	v_perm_b32 v8, v21, v36, s6
	v_perm_b32 v9, v32, v37, s6
	ds_write2_b32 v7, v8, v9 offset1:5
	v_perm_b32 v8, v28, v39, s6
	v_perm_b32 v9, v29, v40, s6
	ds_write2_b32 v7, v8, v9 offset0:10 offset1:15
	v_perm_b32 v8, v33, v38, s6
	ds_write_b32 v7, v8 offset:80
.LBB0_25:
	s_or_b64 exec, exec, s[4:5]
	v_add_u32_e32 v11, 0xc00, v0
	v_add_u32_e32 v13, 0x1800, v0
	s_waitcnt lgkmcnt(0)
	s_barrier
	v_add_u32_e32 v7, 0x300, v0
	ds_read2_b32 v[17:18], v11 offset0:32 offset1:157
	v_add_u32_e32 v11, 0x1000, v0
	ds_read2_b32 v[19:20], v13 offset0:64 offset1:189
	v_add_u32_e32 v13, 0x800, v0
	v_add_u32_e32 v15, 0x1400, v0
	ds_read2_b32 v[9:10], v0 offset1:125
	ds_read2_b32 v[7:8], v7 offset0:58 offset1:208
	ds_read2_b32 v[11:12], v11 offset0:26 offset1:176
	;; [unrolled: 1-line block ×4, first 2 shown]
	ds_read_b32 v24, v0 offset:7400
	s_and_saveexec_b64 s[4:5], vcc
	s_cbranch_execz .LBB0_27
; %bb.26:
	ds_read_b32 v36, v0 offset:1500
	ds_read_b32 v37, v0 offset:3100
	;; [unrolled: 1-line block ×5, first 2 shown]
	s_waitcnt lgkmcnt(4)
	v_lshrrev_b32_e32 v21, 16, v36
	s_waitcnt lgkmcnt(3)
	v_lshrrev_b32_e32 v32, 16, v37
	;; [unrolled: 2-line block ×5, first 2 shown]
.LBB0_27:
	s_or_b64 exec, exec, s[4:5]
	v_mov_b32_e32 v25, 41
	v_mul_lo_u16_sdwa v26, v3, v25 dst_sel:DWORD dst_unused:UNUSED_PAD src0_sel:BYTE_0 src1_sel:DWORD
	v_lshrrev_b16_e32 v26, 10, v26
	v_mul_lo_u16_e32 v27, 25, v26
	v_sub_u16_e32 v27, v3, v27
	v_mov_b32_e32 v30, 4
	v_mul_lo_u16_sdwa v25, v23, v25 dst_sel:DWORD dst_unused:UNUSED_PAD src0_sel:BYTE_0 src1_sel:DWORD
	v_lshlrev_b32_sdwa v31, v30, v27 dst_sel:DWORD dst_unused:UNUSED_PAD src0_sel:DWORD src1_sel:BYTE_0
	v_lshrrev_b16_e32 v25, 10, v25
	global_load_dwordx4 v[41:44], v31, s[12:13] offset:80
	v_mul_lo_u16_e32 v31, 25, v25
	v_sub_u16_e32 v23, v23, v31
	v_lshlrev_b32_sdwa v30, v30, v23 dst_sel:DWORD dst_unused:UNUSED_PAD src0_sel:DWORD src1_sel:BYTE_0
	s_movk_i32 s15, 0x47af
	global_load_dwordx4 v[45:48], v30, s[12:13] offset:80
	v_mul_u32_u24_sdwa v30, v22, s15 dst_sel:DWORD dst_unused:UNUSED_PAD src0_sel:WORD_0 src1_sel:DWORD
	v_sub_u16_sdwa v31, v22, v30 dst_sel:DWORD dst_unused:UNUSED_PAD src0_sel:DWORD src1_sel:WORD_1
	v_lshrrev_b16_e32 v31, 1, v31
	v_add_u16_sdwa v30, v31, v30 dst_sel:DWORD dst_unused:UNUSED_PAD src0_sel:DWORD src1_sel:WORD_1
	v_lshrrev_b16_e32 v30, 4, v30
	v_mul_lo_u16_e32 v31, 25, v30
	v_sub_u16_e32 v22, v22, v31
	v_lshlrev_b32_e32 v31, 4, v22
	global_load_dwordx4 v[49:52], v31, s[12:13] offset:80
	s_waitcnt lgkmcnt(7)
	v_lshrrev_b32_e32 v58, 16, v17
	s_waitcnt lgkmcnt(3)
	v_lshrrev_b32_e32 v59, 16, v12
	v_lshrrev_b32_e32 v60, 16, v19
	;; [unrolled: 1-line block ×4, first 2 shown]
	s_waitcnt lgkmcnt(2)
	v_lshrrev_b32_e32 v61, 16, v13
	v_lshrrev_b32_e32 v62, 16, v18
	v_mov_b32_e32 v65, 2
	s_waitcnt lgkmcnt(1)
	v_lshrrev_b32_e32 v55, 16, v16
	v_lshrrev_b32_e32 v63, 16, v15
	;; [unrolled: 1-line block ×3, first 2 shown]
	v_lshlrev_b32_sdwa v27, v65, v27 dst_sel:DWORD dst_unused:UNUSED_PAD src0_sel:DWORD src1_sel:BYTE_0
	v_lshlrev_b32_sdwa v23, v65, v23 dst_sel:DWORD dst_unused:UNUSED_PAD src0_sel:DWORD src1_sel:BYTE_0
	v_lshrrev_b32_e32 v53, 16, v14
	s_waitcnt lgkmcnt(0)
	v_lshrrev_b32_e32 v56, 16, v24
	s_movk_i32 s8, 0x3b9c
	s_mov_b32 s14, 0xbb9c
	s_movk_i32 s7, 0x38b4
	s_mov_b32 s9, 0xb8b4
	s_movk_i32 s6, 0x34f2
	v_lshrrev_b32_e32 v31, 16, v9
	v_lshrrev_b32_e32 v34, 16, v10
	;; [unrolled: 1-line block ×3, first 2 shown]
	s_waitcnt vmcnt(0)
	s_barrier
	v_lshlrev_b32_e32 v22, 2, v22
	v_mul_f16_sdwa v67, v42, v58 dst_sel:DWORD dst_unused:UNUSED_PAD src0_sel:WORD_1 src1_sel:DWORD
	v_mul_f16_sdwa v69, v43, v59 dst_sel:DWORD dst_unused:UNUSED_PAD src0_sel:WORD_1 src1_sel:DWORD
	;; [unrolled: 1-line block ×12, first 2 shown]
	v_fma_f16 v17, v42, v17, -v67
	v_fma_f16 v12, v43, v12, -v69
	v_fma_f16 v43, v43, v59, v70
	v_fma_f16 v19, v44, v19, -v71
	v_fma_f16 v44, v44, v60, v72
	v_mul_f16_sdwa v59, v54, v50 dst_sel:DWORD dst_unused:UNUSED_PAD src0_sel:DWORD src1_sel:WORD_1
	v_mul_f16_sdwa v60, v11, v50 dst_sel:DWORD dst_unused:UNUSED_PAD src0_sel:DWORD src1_sel:WORD_1
	v_mul_f16_sdwa v77, v47, v63 dst_sel:DWORD dst_unused:UNUSED_PAD src0_sel:WORD_1 src1_sel:DWORD
	v_mul_f16_sdwa v78, v47, v15 dst_sel:DWORD dst_unused:UNUSED_PAD src0_sel:WORD_1 src1_sel:DWORD
	;; [unrolled: 1-line block ×4, first 2 shown]
	v_fma_f16 v8, v41, v8, -v65
	v_fma_f16 v41, v41, v57, v66
	v_fma_f16 v13, v45, v13, -v73
	v_fma_f16 v45, v45, v61, v74
	;; [unrolled: 2-line block ×3, first 2 shown]
	v_mul_f16_sdwa v61, v55, v51 dst_sel:DWORD dst_unused:UNUSED_PAD src0_sel:DWORD src1_sel:WORD_1
	v_mul_f16_sdwa v62, v16, v51 dst_sel:DWORD dst_unused:UNUSED_PAD src0_sel:DWORD src1_sel:WORD_1
	v_fma_f16 v11, v11, v50, -v59
	v_fma_f16 v50, v54, v50, v60
	v_add_f16_e32 v54, v17, v12
	v_fma_f16 v42, v42, v58, v68
	v_fma_f16 v15, v47, v15, -v77
	v_fma_f16 v47, v47, v63, v78
	v_fma_f16 v20, v48, v20, -v79
	v_fma_f16 v48, v48, v64, v80
	v_mul_f16_sdwa v57, v53, v49 dst_sel:DWORD dst_unused:UNUSED_PAD src0_sel:DWORD src1_sel:WORD_1
	v_mul_f16_sdwa v58, v14, v49 dst_sel:DWORD dst_unused:UNUSED_PAD src0_sel:DWORD src1_sel:WORD_1
	;; [unrolled: 1-line block ×4, first 2 shown]
	v_fma_f16 v16, v16, v51, -v61
	v_fma_f16 v51, v55, v51, v62
	v_fma_f16 v54, v54, -0.5, v9
	v_sub_f16_e32 v55, v41, v44
	v_fma_f16 v14, v14, v49, -v57
	v_fma_f16 v49, v53, v49, v58
	v_fma_f16 v24, v24, v52, -v63
	v_fma_f16 v52, v56, v52, v64
	v_fma_f16 v56, v55, s8, v54
	v_sub_f16_e32 v57, v42, v43
	v_sub_f16_e32 v58, v8, v17
	;; [unrolled: 1-line block ×3, first 2 shown]
	v_fma_f16 v54, v55, s14, v54
	v_fma_f16 v56, v57, s7, v56
	v_add_f16_e32 v58, v58, v59
	v_fma_f16 v54, v57, s9, v54
	v_fma_f16 v56, v58, s6, v56
	;; [unrolled: 1-line block ×3, first 2 shown]
	v_add_f16_e32 v58, v8, v19
	v_add_f16_e32 v53, v9, v8
	v_fma_f16 v9, v58, -0.5, v9
	v_add_f16_e32 v53, v53, v17
	v_fma_f16 v58, v57, s14, v9
	v_fma_f16 v9, v57, s8, v9
	v_add_f16_e32 v57, v42, v43
	v_add_f16_e32 v53, v53, v12
	v_sub_f16_e32 v59, v17, v8
	v_sub_f16_e32 v60, v12, v19
	v_fma_f16 v57, v57, -0.5, v31
	v_sub_f16_e32 v8, v8, v19
	v_add_f16_e32 v53, v53, v19
	v_fma_f16 v58, v55, s7, v58
	v_add_f16_e32 v59, v59, v60
	v_fma_f16 v9, v55, s9, v9
	v_fma_f16 v19, v8, s14, v57
	v_sub_f16_e32 v12, v17, v12
	v_fma_f16 v58, v59, s6, v58
	v_fma_f16 v9, v59, s6, v9
	;; [unrolled: 1-line block ×3, first 2 shown]
	v_sub_f16_e32 v19, v41, v42
	v_sub_f16_e32 v59, v44, v43
	v_fma_f16 v57, v8, s8, v57
	v_add_f16_e32 v19, v19, v59
	v_fma_f16 v57, v12, s7, v57
	v_fma_f16 v17, v19, s6, v17
	;; [unrolled: 1-line block ×3, first 2 shown]
	v_add_f16_e32 v57, v41, v44
	v_add_f16_e32 v55, v31, v41
	v_fma_f16 v31, v57, -0.5, v31
	v_add_f16_e32 v55, v55, v42
	v_fma_f16 v57, v12, s8, v31
	v_sub_f16_e32 v41, v42, v41
	v_sub_f16_e32 v42, v43, v44
	v_fma_f16 v12, v12, s14, v31
	v_fma_f16 v57, v8, s9, v57
	v_add_f16_e32 v41, v41, v42
	v_fma_f16 v8, v8, s7, v12
	v_add_f16_e32 v31, v18, v15
	v_add_f16_e32 v55, v55, v43
	v_fma_f16 v42, v41, s6, v57
	v_fma_f16 v8, v41, s6, v8
	v_fma_f16 v31, v31, -0.5, v10
	v_sub_f16_e32 v41, v45, v48
	v_add_f16_e32 v55, v55, v44
	v_fma_f16 v43, v41, s8, v31
	v_sub_f16_e32 v44, v46, v47
	v_sub_f16_e32 v57, v13, v18
	;; [unrolled: 1-line block ×3, first 2 shown]
	v_fma_f16 v31, v41, s14, v31
	v_fma_f16 v43, v44, s7, v43
	v_add_f16_e32 v57, v57, v59
	v_fma_f16 v31, v44, s9, v31
	v_fma_f16 v43, v57, s6, v43
	;; [unrolled: 1-line block ×3, first 2 shown]
	v_add_f16_e32 v57, v13, v20
	v_add_f16_e32 v12, v10, v13
	v_fma_f16 v10, v57, -0.5, v10
	v_add_f16_e32 v12, v12, v18
	v_fma_f16 v57, v44, s14, v10
	v_fma_f16 v10, v44, s8, v10
	v_add_f16_e32 v44, v46, v47
	v_add_f16_e32 v12, v12, v15
	v_sub_f16_e32 v59, v18, v13
	v_sub_f16_e32 v60, v15, v20
	v_fma_f16 v44, v44, -0.5, v34
	v_sub_f16_e32 v13, v13, v20
	v_add_f16_e32 v12, v12, v20
	v_fma_f16 v57, v41, s7, v57
	v_add_f16_e32 v59, v59, v60
	v_fma_f16 v10, v41, s9, v10
	v_fma_f16 v20, v13, s14, v44
	v_sub_f16_e32 v15, v18, v15
	v_fma_f16 v57, v59, s6, v57
	v_fma_f16 v10, v59, s6, v10
	;; [unrolled: 1-line block ×3, first 2 shown]
	v_sub_f16_e32 v20, v45, v46
	v_sub_f16_e32 v59, v48, v47
	v_fma_f16 v44, v13, s8, v44
	v_add_f16_e32 v20, v20, v59
	v_fma_f16 v44, v15, s7, v44
	v_fma_f16 v18, v20, s6, v18
	;; [unrolled: 1-line block ×3, first 2 shown]
	v_add_f16_e32 v44, v45, v48
	v_add_f16_e32 v41, v34, v45
	v_fma_f16 v34, v44, -0.5, v34
	v_add_f16_e32 v41, v41, v46
	v_fma_f16 v44, v15, s8, v34
	v_sub_f16_e32 v45, v46, v45
	v_sub_f16_e32 v46, v47, v48
	v_fma_f16 v15, v15, s14, v34
	v_fma_f16 v44, v13, s9, v44
	v_add_f16_e32 v45, v45, v46
	v_fma_f16 v13, v13, s7, v15
	v_add_f16_e32 v34, v11, v16
	v_add_f16_e32 v41, v41, v47
	v_fma_f16 v44, v45, s6, v44
	v_fma_f16 v13, v45, s6, v13
	v_fma_f16 v34, v34, -0.5, v7
	v_sub_f16_e32 v45, v49, v52
	v_add_f16_e32 v41, v41, v48
	v_fma_f16 v46, v45, s8, v34
	v_sub_f16_e32 v47, v50, v51
	v_sub_f16_e32 v48, v14, v11
	;; [unrolled: 1-line block ×3, first 2 shown]
	v_fma_f16 v34, v45, s14, v34
	v_fma_f16 v46, v47, s7, v46
	v_add_f16_e32 v48, v48, v59
	v_fma_f16 v34, v47, s9, v34
	v_fma_f16 v46, v48, s6, v46
	;; [unrolled: 1-line block ×3, first 2 shown]
	v_add_f16_e32 v48, v14, v24
	v_add_f16_e32 v15, v7, v14
	v_fma_f16 v7, v48, -0.5, v7
	v_add_f16_e32 v15, v15, v11
	v_fma_f16 v48, v47, s14, v7
	v_fma_f16 v7, v47, s8, v7
	v_add_f16_e32 v47, v50, v51
	v_add_f16_e32 v15, v15, v16
	v_sub_f16_e32 v59, v11, v14
	v_sub_f16_e32 v60, v16, v24
	v_fma_f16 v47, v47, -0.5, v35
	v_sub_f16_e32 v14, v14, v24
	v_add_f16_e32 v15, v15, v24
	v_fma_f16 v48, v45, s7, v48
	v_add_f16_e32 v59, v59, v60
	v_fma_f16 v7, v45, s9, v7
	v_fma_f16 v24, v14, s14, v47
	v_sub_f16_e32 v11, v11, v16
	v_fma_f16 v48, v59, s6, v48
	v_fma_f16 v7, v59, s6, v7
	;; [unrolled: 1-line block ×3, first 2 shown]
	v_sub_f16_e32 v24, v49, v50
	v_sub_f16_e32 v59, v52, v51
	v_fma_f16 v47, v14, s8, v47
	v_add_f16_e32 v24, v24, v59
	v_fma_f16 v47, v11, s7, v47
	v_fma_f16 v16, v24, s6, v16
	v_fma_f16 v24, v24, s6, v47
	v_add_f16_e32 v47, v49, v52
	v_add_f16_e32 v45, v35, v49
	v_fma_f16 v35, v47, -0.5, v35
	v_fma_f16 v47, v11, s8, v35
	v_fma_f16 v11, v11, s14, v35
	;; [unrolled: 1-line block ×4, first 2 shown]
	v_mul_u32_u24_e32 v14, 0x1f4, v26
	v_add3_u32 v14, 0, v14, v27
	v_pack_b32_f16 v26, v53, v55
	v_pack_b32_f16 v17, v56, v17
	ds_write2_b32 v14, v26, v17 offset1:25
	v_pack_b32_f16 v17, v58, v42
	v_pack_b32_f16 v8, v9, v8
	ds_write2_b32 v14, v17, v8 offset0:50 offset1:75
	v_pack_b32_f16 v8, v54, v19
	ds_write_b32 v14, v8 offset:400
	v_mul_u32_u24_e32 v8, 0x1f4, v25
	v_add3_u32 v8, 0, v8, v23
	v_pack_b32_f16 v9, v12, v41
	v_pack_b32_f16 v12, v43, v18
	v_add_f16_e32 v45, v45, v50
	ds_write2_b32 v8, v9, v12 offset1:25
	v_pack_b32_f16 v9, v57, v44
	v_pack_b32_f16 v10, v10, v13
	v_add_f16_e32 v45, v45, v51
	v_sub_f16_e32 v49, v50, v49
	v_sub_f16_e32 v50, v51, v52
	ds_write2_b32 v8, v9, v10 offset0:50 offset1:75
	v_pack_b32_f16 v9, v31, v20
	v_add_f16_e32 v45, v45, v52
	v_add_f16_e32 v49, v49, v50
	ds_write_b32 v8, v9 offset:400
	v_mul_u32_u24_e32 v8, 0x1f4, v30
	v_fma_f16 v47, v49, s6, v47
	v_fma_f16 v11, v49, s6, v11
	v_add3_u32 v8, 0, v8, v22
	v_pack_b32_f16 v9, v15, v45
	v_pack_b32_f16 v10, v46, v16
	ds_write2_b32 v8, v9, v10 offset1:25
	v_pack_b32_f16 v9, v48, v47
	v_pack_b32_f16 v7, v7, v11
	ds_write2_b32 v8, v9, v7 offset0:50 offset1:75
	v_pack_b32_f16 v7, v34, v24
	ds_write_b32 v8, v7 offset:400
	s_and_saveexec_b64 s[4:5], vcc
	s_cbranch_execz .LBB0_29
; %bb.28:
	v_mul_u32_u24_sdwa v7, v4, s15 dst_sel:DWORD dst_unused:UNUSED_PAD src0_sel:WORD_0 src1_sel:DWORD
	v_sub_u16_sdwa v8, v4, v7 dst_sel:DWORD dst_unused:UNUSED_PAD src0_sel:DWORD src1_sel:WORD_1
	v_lshrrev_b16_e32 v8, 1, v8
	v_add_u16_sdwa v7, v8, v7 dst_sel:DWORD dst_unused:UNUSED_PAD src0_sel:DWORD src1_sel:WORD_1
	v_lshrrev_b16_e32 v7, 4, v7
	v_mul_lo_u16_e32 v7, 25, v7
	v_sub_u16_e32 v4, v4, v7
	v_lshlrev_b32_e32 v7, 4, v4
	global_load_dwordx4 v[7:10], v7, s[12:13] offset:80
	v_lshl_add_u32 v4, v4, 2, 0
	v_add_u32_e32 v11, 0x1c00, v4
	s_waitcnt vmcnt(0)
	v_mul_f16_sdwa v12, v38, v10 dst_sel:DWORD dst_unused:UNUSED_PAD src0_sel:DWORD src1_sel:WORD_1
	v_mul_f16_sdwa v13, v40, v9 dst_sel:DWORD dst_unused:UNUSED_PAD src0_sel:DWORD src1_sel:WORD_1
	;; [unrolled: 1-line block ×8, first 2 shown]
	v_fma_f16 v12, v33, v10, v12
	v_fma_f16 v13, v29, v9, v13
	;; [unrolled: 1-line block ×4, first 2 shown]
	v_fma_f16 v7, v37, v7, -v16
	v_fma_f16 v8, v39, v8, -v17
	v_fma_f16 v9, v40, v9, -v18
	v_fma_f16 v10, v38, v10, -v19
	v_add_f16_e32 v16, v21, v15
	v_add_f16_e32 v17, v36, v7
	v_sub_f16_e32 v18, v14, v15
	v_sub_f16_e32 v19, v13, v12
	v_add_f16_e32 v22, v15, v12
	v_sub_f16_e32 v24, v15, v14
	v_sub_f16_e32 v25, v12, v13
	v_add_f16_e32 v26, v14, v13
	v_add_f16_e32 v29, v7, v10
	v_add_f16_e32 v32, v8, v9
	v_sub_f16_e32 v20, v7, v10
	v_sub_f16_e32 v23, v8, v9
	;; [unrolled: 1-line block ×6, first 2 shown]
	v_add_f16_e32 v14, v16, v14
	v_add_f16_e32 v8, v17, v8
	;; [unrolled: 1-line block ×3, first 2 shown]
	v_fma_f16 v17, v22, -0.5, v21
	v_add_f16_e32 v18, v24, v25
	v_fma_f16 v19, v26, -0.5, v21
	v_fma_f16 v22, v29, -0.5, v36
	;; [unrolled: 1-line block ×3, first 2 shown]
	v_sub_f16_e32 v28, v9, v10
	v_sub_f16_e32 v31, v10, v9
	v_add_f16_e32 v13, v14, v13
	v_add_f16_e32 v8, v8, v9
	v_fma_f16 v9, v23, s14, v17
	v_fma_f16 v14, v23, s8, v17
	;; [unrolled: 1-line block ×7, first 2 shown]
	v_add_f16_e32 v21, v27, v28
	v_add_f16_e32 v7, v7, v31
	v_fma_f16 v22, v30, s14, v22
	v_add_f16_e32 v12, v13, v12
	v_add_f16_e32 v8, v8, v10
	v_fma_f16 v9, v20, s7, v9
	v_fma_f16 v10, v20, s9, v14
	;; [unrolled: 1-line block ×16, first 2 shown]
	v_pack_b32_f16 v8, v8, v12
	v_pack_b32_f16 v7, v7, v14
	;; [unrolled: 1-line block ×5, first 2 shown]
	ds_write2_b32 v11, v8, v7 offset0:83 offset1:108
	ds_write2_b32 v11, v10, v9 offset0:133 offset1:158
	ds_write_b32 v4, v12 offset:7900
.LBB0_29:
	s_or_b64 exec, exec, s[4:5]
	v_mul_u32_u24_e32 v4, 15, v3
	v_lshlrev_b32_e32 v4, 2, v4
	s_waitcnt lgkmcnt(0)
	s_barrier
	global_load_dwordx4 v[7:10], v4, s[12:13] offset:480
	global_load_dwordx4 v[11:14], v4, s[12:13] offset:496
	;; [unrolled: 1-line block ×3, first 2 shown]
	global_load_dwordx3 v[19:21], v4, s[12:13] offset:528
	ds_read2_b32 v[22:23], v0 offset1:125
	v_add_u32_e32 v4, 0x200, v0
	v_add_u32_e32 v38, 0x600, v0
	;; [unrolled: 1-line block ×7, first 2 shown]
	ds_read2_b32 v[24:25], v4 offset0:122 offset1:247
	ds_read2_b32 v[26:27], v38 offset0:116 offset1:241
	ds_read2_b32 v[28:29], v39 offset0:110 offset1:235
	ds_read2_b32 v[30:31], v40 offset0:104 offset1:229
	ds_read2_b32 v[32:33], v41 offset0:98 offset1:223
	ds_read2_b32 v[34:35], v42 offset0:92 offset1:217
	ds_read2_b32 v[36:37], v43 offset0:86 offset1:211
	s_waitcnt lgkmcnt(7)
	v_lshrrev_b32_e32 v44, 16, v23
	s_waitcnt lgkmcnt(4)
	v_lshrrev_b32_e32 v46, 16, v28
	;; [unrolled: 2-line block ×4, first 2 shown]
	v_lshrrev_b32_e32 v53, 16, v35
	s_waitcnt lgkmcnt(0)
	v_lshrrev_b32_e32 v54, 16, v36
	v_lshrrev_b32_e32 v55, 16, v37
	;; [unrolled: 1-line block ×10, first 2 shown]
	s_mov_b32 s4, 0xb9a8
	s_movk_i32 s5, 0x39a8
	s_mov_b32 s6, 0xbb64
	s_mov_b32 s7, 0xb61f
	s_movk_i32 s8, 0x361f
	s_movk_i32 s9, 0x3b64
	s_waitcnt vmcnt(0)
	s_barrier
	v_mul_f16_sdwa v59, v7, v44 dst_sel:DWORD dst_unused:UNUSED_PAD src0_sel:WORD_1 src1_sel:DWORD
	v_mul_f16_sdwa v60, v7, v23 dst_sel:DWORD dst_unused:UNUSED_PAD src0_sel:WORD_1 src1_sel:DWORD
	v_mul_f16_sdwa v81, v52, v18 dst_sel:DWORD dst_unused:UNUSED_PAD src0_sel:DWORD src1_sel:WORD_1
	v_fma_f16 v23, v7, v23, -v59
	v_fma_f16 v7, v7, v44, v60
	v_fma_f16 v44, v34, v18, -v81
	v_mul_f16_sdwa v34, v34, v18 dst_sel:DWORD dst_unused:UNUSED_PAD src0_sel:DWORD src1_sel:WORD_1
	v_fma_f16 v18, v52, v18, v34
	v_mul_f16_sdwa v34, v53, v19 dst_sel:DWORD dst_unused:UNUSED_PAD src0_sel:DWORD src1_sel:WORD_1
	v_fma_f16 v34, v35, v19, -v34
	v_mul_f16_sdwa v35, v35, v19 dst_sel:DWORD dst_unused:UNUSED_PAD src0_sel:DWORD src1_sel:WORD_1
	v_fma_f16 v19, v53, v19, v35
	v_mul_f16_sdwa v35, v54, v20 dst_sel:DWORD dst_unused:UNUSED_PAD src0_sel:DWORD src1_sel:WORD_1
	;; [unrolled: 4-line block ×3, first 2 shown]
	v_mul_f16_sdwa v61, v8, v56 dst_sel:DWORD dst_unused:UNUSED_PAD src0_sel:WORD_1 src1_sel:DWORD
	v_mul_f16_sdwa v62, v8, v24 dst_sel:DWORD dst_unused:UNUSED_PAD src0_sel:WORD_1 src1_sel:DWORD
	;; [unrolled: 1-line block ×4, first 2 shown]
	v_mul_f16_sdwa v69, v46, v12 dst_sel:DWORD dst_unused:UNUSED_PAD src0_sel:DWORD src1_sel:WORD_1
	v_mul_f16_sdwa v70, v28, v12 dst_sel:DWORD dst_unused:UNUSED_PAD src0_sel:DWORD src1_sel:WORD_1
	;; [unrolled: 1-line block ×6, first 2 shown]
	v_fma_f16 v36, v37, v21, -v36
	v_mul_f16_sdwa v37, v37, v21 dst_sel:DWORD dst_unused:UNUSED_PAD src0_sel:DWORD src1_sel:WORD_1
	v_fma_f16 v24, v8, v24, -v61
	v_fma_f16 v8, v8, v56, v62
	v_fma_f16 v26, v10, v26, -v65
	v_fma_f16 v10, v10, v58, v66
	;; [unrolled: 2-line block ×5, first 2 shown]
	v_fma_f16 v21, v55, v21, v37
	v_lshrrev_b32_e32 v37, 16, v22
	v_mul_f16_sdwa v63, v9, v57 dst_sel:DWORD dst_unused:UNUSED_PAD src0_sel:WORD_1 src1_sel:DWORD
	v_mul_f16_sdwa v64, v9, v25 dst_sel:DWORD dst_unused:UNUSED_PAD src0_sel:WORD_1 src1_sel:DWORD
	v_mul_f16_sdwa v67, v45, v11 dst_sel:DWORD dst_unused:UNUSED_PAD src0_sel:DWORD src1_sel:WORD_1
	v_mul_f16_sdwa v68, v27, v11 dst_sel:DWORD dst_unused:UNUSED_PAD src0_sel:DWORD src1_sel:WORD_1
	;; [unrolled: 1-line block ×8, first 2 shown]
	v_sub_f16_e32 v30, v22, v30
	v_sub_f16_e32 v14, v37, v14
	;; [unrolled: 1-line block ×8, first 2 shown]
	v_fma_f16 v25, v9, v25, -v63
	v_fma_f16 v9, v9, v57, v64
	v_fma_f16 v27, v27, v11, -v67
	v_fma_f16 v11, v45, v11, v68
	;; [unrolled: 2-line block ×5, first 2 shown]
	v_fma_f16 v26, v26, 2.0, -v44
	v_fma_f16 v10, v10, 2.0, -v18
	;; [unrolled: 1-line block ×4, first 2 shown]
	v_sub_f16_e32 v18, v30, v18
	v_add_f16_e32 v44, v14, v44
	v_sub_f16_e32 v20, v32, v20
	v_add_f16_e32 v35, v16, v35
	v_fma_f16 v22, v22, 2.0, -v30
	v_fma_f16 v37, v37, 2.0, -v14
	;; [unrolled: 1-line block ×4, first 2 shown]
	v_sub_f16_e32 v31, v23, v31
	v_sub_f16_e32 v15, v7, v15
	;; [unrolled: 1-line block ×8, first 2 shown]
	v_fma_f16 v30, v30, 2.0, -v18
	v_fma_f16 v14, v14, 2.0, -v44
	;; [unrolled: 1-line block ×8, first 2 shown]
	v_sub_f16_e32 v19, v31, v19
	v_add_f16_e32 v34, v15, v34
	v_sub_f16_e32 v21, v33, v21
	v_add_f16_e32 v36, v17, v36
	v_fma_f16 v45, v32, s4, v30
	v_fma_f16 v46, v16, s4, v14
	v_fma_f16 v23, v23, 2.0, -v31
	v_fma_f16 v7, v7, 2.0, -v15
	;; [unrolled: 1-line block ×8, first 2 shown]
	v_fma_f16 v16, v16, s4, v45
	v_fma_f16 v32, v32, s5, v46
	v_fma_f16 v45, v20, s5, v18
	v_fma_f16 v46, v35, s5, v44
	v_fma_f16 v35, v35, s4, v45
	v_fma_f16 v20, v20, s5, v46
	v_fma_f16 v45, v33, s4, v31
	v_fma_f16 v46, v17, s4, v15
	v_sub_f16_e32 v26, v22, v26
	v_sub_f16_e32 v10, v37, v10
	;; [unrolled: 1-line block ×8, first 2 shown]
	v_fma_f16 v17, v17, s4, v45
	v_fma_f16 v33, v33, s5, v46
	v_fma_f16 v24, v24, 2.0, -v28
	v_fma_f16 v8, v8, 2.0, -v12
	v_fma_f16 v25, v25, 2.0, -v29
	v_fma_f16 v9, v9, 2.0, -v13
	v_fma_f16 v30, v30, 2.0, -v16
	v_fma_f16 v14, v14, 2.0, -v32
	v_sub_f16_e32 v12, v26, v12
	v_add_f16_e32 v28, v10, v28
	v_fma_f16 v31, v31, 2.0, -v17
	v_fma_f16 v15, v15, 2.0, -v33
	v_sub_f16_e32 v13, v27, v13
	v_add_f16_e32 v29, v11, v29
	v_fma_f16 v45, v21, s5, v19
	v_fma_f16 v46, v36, s5, v34
	v_fma_f16 v22, v22, 2.0, -v26
	v_fma_f16 v37, v37, 2.0, -v10
	;; [unrolled: 1-line block ×8, first 2 shown]
	v_fma_f16 v36, v36, s4, v45
	v_fma_f16 v21, v21, s5, v46
	;; [unrolled: 1-line block ×4, first 2 shown]
	v_sub_f16_e32 v24, v22, v24
	v_sub_f16_e32 v8, v37, v8
	v_fma_f16 v18, v18, 2.0, -v35
	v_fma_f16 v44, v44, 2.0, -v20
	v_sub_f16_e32 v25, v23, v25
	v_sub_f16_e32 v9, v7, v9
	v_fma_f16 v19, v19, 2.0, -v36
	v_fma_f16 v34, v34, 2.0, -v21
	v_fma_f16 v15, v15, s7, v45
	v_fma_f16 v31, v31, s8, v46
	;; [unrolled: 1-line block ×4, first 2 shown]
	v_fma_f16 v22, v22, 2.0, -v24
	v_fma_f16 v37, v37, 2.0, -v8
	;; [unrolled: 1-line block ×4, first 2 shown]
	v_fma_f16 v11, v11, s4, v45
	v_fma_f16 v27, v27, s5, v46
	;; [unrolled: 1-line block ×4, first 2 shown]
	v_sub_f16_e32 v23, v22, v23
	v_sub_f16_e32 v7, v37, v7
	v_fma_f16 v34, v34, s6, v45
	v_fma_f16 v19, v19, s9, v46
	;; [unrolled: 1-line block ×4, first 2 shown]
	v_fma_f16 v22, v22, 2.0, -v23
	v_fma_f16 v37, v37, 2.0, -v7
	;; [unrolled: 1-line block ×4, first 2 shown]
	v_fma_f16 v33, v33, s6, v45
	v_fma_f16 v17, v17, s9, v46
	;; [unrolled: 1-line block ×4, first 2 shown]
	v_fma_f16 v26, v26, 2.0, -v11
	v_fma_f16 v10, v10, 2.0, -v27
	;; [unrolled: 1-line block ×4, first 2 shown]
	v_sub_f16_e32 v9, v24, v9
	v_add_f16_e32 v25, v8, v25
	v_fma_f16 v29, v29, s4, v45
	v_fma_f16 v13, v13, s5, v46
	;; [unrolled: 1-line block ×4, first 2 shown]
	v_pack_b32_f16 v22, v22, v37
	v_pack_b32_f16 v14, v30, v14
	v_fma_f16 v24, v24, 2.0, -v9
	v_fma_f16 v8, v8, 2.0, -v25
	v_fma_f16 v16, v16, 2.0, -v33
	v_fma_f16 v32, v32, 2.0, -v17
	v_fma_f16 v21, v21, s7, v45
	v_fma_f16 v36, v36, s8, v46
	ds_write2_b32 v0, v22, v14 offset1:125
	v_pack_b32_f16 v0, v26, v10
	v_pack_b32_f16 v10, v18, v44
	v_fma_f16 v12, v12, 2.0, -v29
	v_fma_f16 v28, v28, 2.0, -v13
	;; [unrolled: 1-line block ×4, first 2 shown]
	ds_write2_b32 v4, v0, v10 offset0:122 offset1:247
	v_pack_b32_f16 v0, v24, v8
	v_pack_b32_f16 v4, v16, v32
	ds_write2_b32 v38, v0, v4 offset0:116 offset1:241
	v_pack_b32_f16 v0, v12, v28
	v_pack_b32_f16 v4, v35, v20
	;; [unrolled: 3-line block ×6, first 2 shown]
	ds_write2_b32 v43, v0, v4 offset0:86 offset1:211
	s_waitcnt lgkmcnt(0)
	s_barrier
	s_and_saveexec_b64 s[4:5], s[0:1]
	s_cbranch_execz .LBB0_31
; %bb.30:
	v_mul_lo_u32 v0, s3, v5
	v_mul_lo_u32 v4, s2, v6
	v_mad_u64_u32 v[5:6], s[0:1], s2, v5, 0
	v_lshl_add_u32 v9, v3, 2, 0
	ds_read2_b32 v[7:8], v9 offset1:125
	v_add3_u32 v6, v6, v4, v0
	v_lshlrev_b64 v[5:6], 2, v[5:6]
	v_mov_b32_e32 v0, s11
	v_add_co_u32_e32 v5, vcc, s10, v5
	v_addc_co_u32_e32 v6, vcc, v0, v6, vcc
	v_lshlrev_b64 v[0:1], 2, v[1:2]
	v_mov_b32_e32 v4, 0
	v_add_co_u32_e32 v2, vcc, v5, v0
	v_addc_co_u32_e32 v10, vcc, v6, v1, vcc
	v_lshlrev_b64 v[0:1], 2, v[3:4]
	v_add_u32_e32 v5, 0x200, v9
	v_add_co_u32_e32 v0, vcc, v2, v0
	v_addc_co_u32_e32 v1, vcc, v10, v1, vcc
	s_waitcnt lgkmcnt(0)
	global_store_dword v[0:1], v7, off
	v_add_u32_e32 v0, 0x7d, v3
	v_mov_b32_e32 v1, v4
	v_lshlrev_b64 v[0:1], 2, v[0:1]
	ds_read2_b32 v[5:6], v5 offset0:122 offset1:247
	v_add_co_u32_e32 v0, vcc, v2, v0
	v_addc_co_u32_e32 v1, vcc, v10, v1, vcc
	global_store_dword v[0:1], v8, off
	v_add_u32_e32 v0, 0xfa, v3
	v_mov_b32_e32 v1, v4
	v_lshlrev_b64 v[0:1], 2, v[0:1]
	v_add_co_u32_e32 v0, vcc, v2, v0
	v_addc_co_u32_e32 v1, vcc, v10, v1, vcc
	s_waitcnt lgkmcnt(0)
	global_store_dword v[0:1], v5, off
	v_add_u32_e32 v0, 0x177, v3
	v_mov_b32_e32 v1, v4
	v_lshlrev_b64 v[0:1], 2, v[0:1]
	v_add_u32_e32 v5, 0x600, v9
	v_add_co_u32_e32 v0, vcc, v2, v0
	v_addc_co_u32_e32 v1, vcc, v10, v1, vcc
	global_store_dword v[0:1], v6, off
	v_add_u32_e32 v0, 0x1f4, v3
	v_mov_b32_e32 v1, v4
	ds_read2_b32 v[5:6], v5 offset0:116 offset1:241
	v_lshlrev_b64 v[0:1], 2, v[0:1]
	v_add_co_u32_e32 v0, vcc, v2, v0
	v_addc_co_u32_e32 v1, vcc, v10, v1, vcc
	s_waitcnt lgkmcnt(0)
	global_store_dword v[0:1], v5, off
	v_add_u32_e32 v0, 0x271, v3
	v_mov_b32_e32 v1, v4
	v_lshlrev_b64 v[0:1], 2, v[0:1]
	v_add_u32_e32 v5, 0xa00, v9
	v_add_co_u32_e32 v0, vcc, v2, v0
	v_addc_co_u32_e32 v1, vcc, v10, v1, vcc
	global_store_dword v[0:1], v6, off
	v_add_u32_e32 v0, 0x2ee, v3
	v_mov_b32_e32 v1, v4
	ds_read2_b32 v[5:6], v5 offset0:110 offset1:235
	;; [unrolled: 15-line block ×6, first 2 shown]
	v_lshlrev_b64 v[0:1], 2, v[0:1]
	v_add_u32_e32 v3, 0x753, v3
	v_add_co_u32_e32 v0, vcc, v2, v0
	v_addc_co_u32_e32 v1, vcc, v10, v1, vcc
	s_waitcnt lgkmcnt(0)
	global_store_dword v[0:1], v5, off
	v_lshlrev_b64 v[0:1], 2, v[3:4]
	v_add_co_u32_e32 v0, vcc, v2, v0
	v_addc_co_u32_e32 v1, vcc, v10, v1, vcc
	global_store_dword v[0:1], v6, off
.LBB0_31:
	s_endpgm
	.section	.rodata,"a",@progbits
	.p2align	6, 0x0
	.amdhsa_kernel fft_rtc_fwd_len2000_factors_5_5_5_16_wgs_125_tpt_125_halfLds_half_op_CI_CI_unitstride_sbrr_C2R_dirReg
		.amdhsa_group_segment_fixed_size 0
		.amdhsa_private_segment_fixed_size 0
		.amdhsa_kernarg_size 104
		.amdhsa_user_sgpr_count 6
		.amdhsa_user_sgpr_private_segment_buffer 1
		.amdhsa_user_sgpr_dispatch_ptr 0
		.amdhsa_user_sgpr_queue_ptr 0
		.amdhsa_user_sgpr_kernarg_segment_ptr 1
		.amdhsa_user_sgpr_dispatch_id 0
		.amdhsa_user_sgpr_flat_scratch_init 0
		.amdhsa_user_sgpr_private_segment_size 0
		.amdhsa_uses_dynamic_stack 0
		.amdhsa_system_sgpr_private_segment_wavefront_offset 0
		.amdhsa_system_sgpr_workgroup_id_x 1
		.amdhsa_system_sgpr_workgroup_id_y 0
		.amdhsa_system_sgpr_workgroup_id_z 0
		.amdhsa_system_sgpr_workgroup_info 0
		.amdhsa_system_vgpr_workitem_id 0
		.amdhsa_next_free_vgpr 82
		.amdhsa_next_free_sgpr 28
		.amdhsa_reserve_vcc 1
		.amdhsa_reserve_flat_scratch 0
		.amdhsa_float_round_mode_32 0
		.amdhsa_float_round_mode_16_64 0
		.amdhsa_float_denorm_mode_32 3
		.amdhsa_float_denorm_mode_16_64 3
		.amdhsa_dx10_clamp 1
		.amdhsa_ieee_mode 1
		.amdhsa_fp16_overflow 0
		.amdhsa_exception_fp_ieee_invalid_op 0
		.amdhsa_exception_fp_denorm_src 0
		.amdhsa_exception_fp_ieee_div_zero 0
		.amdhsa_exception_fp_ieee_overflow 0
		.amdhsa_exception_fp_ieee_underflow 0
		.amdhsa_exception_fp_ieee_inexact 0
		.amdhsa_exception_int_div_zero 0
	.end_amdhsa_kernel
	.text
.Lfunc_end0:
	.size	fft_rtc_fwd_len2000_factors_5_5_5_16_wgs_125_tpt_125_halfLds_half_op_CI_CI_unitstride_sbrr_C2R_dirReg, .Lfunc_end0-fft_rtc_fwd_len2000_factors_5_5_5_16_wgs_125_tpt_125_halfLds_half_op_CI_CI_unitstride_sbrr_C2R_dirReg
                                        ; -- End function
	.section	.AMDGPU.csdata,"",@progbits
; Kernel info:
; codeLenInByte = 12868
; NumSgprs: 32
; NumVgprs: 82
; ScratchSize: 0
; MemoryBound: 0
; FloatMode: 240
; IeeeMode: 1
; LDSByteSize: 0 bytes/workgroup (compile time only)
; SGPRBlocks: 3
; VGPRBlocks: 20
; NumSGPRsForWavesPerEU: 32
; NumVGPRsForWavesPerEU: 82
; Occupancy: 3
; WaveLimiterHint : 1
; COMPUTE_PGM_RSRC2:SCRATCH_EN: 0
; COMPUTE_PGM_RSRC2:USER_SGPR: 6
; COMPUTE_PGM_RSRC2:TRAP_HANDLER: 0
; COMPUTE_PGM_RSRC2:TGID_X_EN: 1
; COMPUTE_PGM_RSRC2:TGID_Y_EN: 0
; COMPUTE_PGM_RSRC2:TGID_Z_EN: 0
; COMPUTE_PGM_RSRC2:TIDIG_COMP_CNT: 0
	.type	__hip_cuid_5b1d2e333f69dfe7,@object ; @__hip_cuid_5b1d2e333f69dfe7
	.section	.bss,"aw",@nobits
	.globl	__hip_cuid_5b1d2e333f69dfe7
__hip_cuid_5b1d2e333f69dfe7:
	.byte	0                               ; 0x0
	.size	__hip_cuid_5b1d2e333f69dfe7, 1

	.ident	"AMD clang version 19.0.0git (https://github.com/RadeonOpenCompute/llvm-project roc-6.4.0 25133 c7fe45cf4b819c5991fe208aaa96edf142730f1d)"
	.section	".note.GNU-stack","",@progbits
	.addrsig
	.addrsig_sym __hip_cuid_5b1d2e333f69dfe7
	.amdgpu_metadata
---
amdhsa.kernels:
  - .args:
      - .actual_access:  read_only
        .address_space:  global
        .offset:         0
        .size:           8
        .value_kind:     global_buffer
      - .offset:         8
        .size:           8
        .value_kind:     by_value
      - .actual_access:  read_only
        .address_space:  global
        .offset:         16
        .size:           8
        .value_kind:     global_buffer
      - .actual_access:  read_only
        .address_space:  global
        .offset:         24
        .size:           8
        .value_kind:     global_buffer
      - .actual_access:  read_only
        .address_space:  global
        .offset:         32
        .size:           8
        .value_kind:     global_buffer
      - .offset:         40
        .size:           8
        .value_kind:     by_value
      - .actual_access:  read_only
        .address_space:  global
        .offset:         48
        .size:           8
        .value_kind:     global_buffer
      - .actual_access:  read_only
        .address_space:  global
        .offset:         56
        .size:           8
        .value_kind:     global_buffer
      - .offset:         64
        .size:           4
        .value_kind:     by_value
      - .actual_access:  read_only
        .address_space:  global
        .offset:         72
        .size:           8
        .value_kind:     global_buffer
      - .actual_access:  read_only
        .address_space:  global
        .offset:         80
        .size:           8
        .value_kind:     global_buffer
      - .actual_access:  read_only
        .address_space:  global
        .offset:         88
        .size:           8
        .value_kind:     global_buffer
      - .actual_access:  write_only
        .address_space:  global
        .offset:         96
        .size:           8
        .value_kind:     global_buffer
    .group_segment_fixed_size: 0
    .kernarg_segment_align: 8
    .kernarg_segment_size: 104
    .language:       OpenCL C
    .language_version:
      - 2
      - 0
    .max_flat_workgroup_size: 125
    .name:           fft_rtc_fwd_len2000_factors_5_5_5_16_wgs_125_tpt_125_halfLds_half_op_CI_CI_unitstride_sbrr_C2R_dirReg
    .private_segment_fixed_size: 0
    .sgpr_count:     32
    .sgpr_spill_count: 0
    .symbol:         fft_rtc_fwd_len2000_factors_5_5_5_16_wgs_125_tpt_125_halfLds_half_op_CI_CI_unitstride_sbrr_C2R_dirReg.kd
    .uniform_work_group_size: 1
    .uses_dynamic_stack: false
    .vgpr_count:     82
    .vgpr_spill_count: 0
    .wavefront_size: 64
amdhsa.target:   amdgcn-amd-amdhsa--gfx906
amdhsa.version:
  - 1
  - 2
...

	.end_amdgpu_metadata
